;; amdgpu-corpus repo=ROCm/rocFFT kind=compiled arch=gfx1030 opt=O3
	.text
	.amdgcn_target "amdgcn-amd-amdhsa--gfx1030"
	.amdhsa_code_object_version 6
	.protected	bluestein_single_back_len13_dim1_half_op_CI_CI ; -- Begin function bluestein_single_back_len13_dim1_half_op_CI_CI
	.globl	bluestein_single_back_len13_dim1_half_op_CI_CI
	.p2align	8
	.type	bluestein_single_back_len13_dim1_half_op_CI_CI,@function
bluestein_single_back_len13_dim1_half_op_CI_CI: ; @bluestein_single_back_len13_dim1_half_op_CI_CI
; %bb.0:
	s_load_dwordx4 s[12:15], s[4:5], 0x28
	v_lshl_or_b32 v17, s6, 6, v0
	v_mov_b32_e32 v18, 0
	s_mov_b32 s0, exec_lo
	s_waitcnt lgkmcnt(0)
	v_cmpx_gt_u64_e64 s[12:13], v[17:18]
	s_cbranch_execz .LBB0_2
; %bb.1:
	s_clause 0x2
	s_load_dwordx4 s[0:3], s[4:5], 0x18
	s_load_dwordx2 s[6:7], s[4:5], 0x0
	s_load_dwordx2 s[4:5], s[4:5], 0x38
	s_waitcnt lgkmcnt(0)
	s_load_dwordx4 s[8:11], s[0:1], 0x0
	s_clause 0x1
	global_load_dwordx4 v[13:16], v18, s[6:7]
	global_load_dwordx4 v[9:12], v18, s[6:7] offset:16
	s_waitcnt lgkmcnt(0)
	v_mad_u64_u32 v[1:2], null, s10, v17, 0
	s_lshl_b64 s[0:1], s[8:9], 2
	s_lshl_b64 s[12:13], s[8:9], 4
	v_mad_u64_u32 v[2:3], null, s11, v17, v[2:3]
	s_lshl_b64 s[10:11], s[8:9], 3
	v_lshlrev_b64 v[5:6], 2, v[1:2]
	global_load_dwordx4 v[1:4], v18, s[6:7] offset:32
	v_add_co_u32 v5, vcc_lo, s14, v5
	v_add_co_ci_u32_e32 v6, vcc_lo, s15, v6, vcc_lo
	s_lshl_b64 s[14:15], s[8:9], 5
	v_add_co_u32 v7, vcc_lo, v5, s0
	v_add_co_ci_u32_e32 v8, vcc_lo, s1, v6, vcc_lo
	v_add_co_u32 v19, vcc_lo, v5, s10
	v_mad_u64_u32 v[21:22], null, s8, 12, v[5:6]
	v_mad_u64_u32 v[25:26], null, s8, 20, v[5:6]
	v_add_co_ci_u32_e32 v20, vcc_lo, s11, v6, vcc_lo
	v_add_co_u32 v23, vcc_lo, v5, s12
	v_add_co_ci_u32_e32 v24, vcc_lo, s13, v6, vcc_lo
	v_mad_u64_u32 v[29:30], null, s8, 28, v[5:6]
	v_add_co_u32 v31, vcc_lo, v5, s14
	v_add_co_ci_u32_e32 v32, vcc_lo, s15, v6, vcc_lo
	v_mad_u64_u32 v[27:28], null, s8, 24, v[5:6]
	v_mad_u64_u32 v[33:34], null, s8, 36, v[5:6]
	;; [unrolled: 1-line block ×5, first 2 shown]
	s_clause 0x4
	global_load_dword v42, v[5:6], off
	global_load_dword v43, v[7:8], off
	;; [unrolled: 1-line block ×5, first 2 shown]
	v_mov_b32_e32 v5, v22
	v_mov_b32_e32 v6, v26
	;; [unrolled: 1-line block ×6, first 2 shown]
	v_mad_u64_u32 v[30:31], null, s9, 12, v[5:6]
	v_mad_u64_u32 v[31:32], null, s9, 20, v[6:7]
	;; [unrolled: 1-line block ×3, first 2 shown]
	v_mov_b32_e32 v23, v38
	v_mov_b32_e32 v5, v40
	;; [unrolled: 1-line block ×3, first 2 shown]
	v_mad_u64_u32 v[40:41], null, s9, 36, v[19:20]
	v_mad_u64_u32 v[23:24], null, s9, 44, v[23:24]
	global_load_dword v21, v[21:22], off
	v_mov_b32_e32 v28, v6
	v_mad_u64_u32 v[5:6], null, s9, 48, v[5:6]
	v_mov_b32_e32 v26, v31
	v_mov_b32_e32 v34, v40
	v_mov_b32_e32 v38, v23
	v_mov_b32_e32 v40, v5
	s_waitcnt vmcnt(7)
	v_mad_u64_u32 v[7:8], null, s9, 28, v[8:9]
	v_lshrrev_b32_e32 v32, 16, v10
	v_lshrrev_b32_e32 v31, 16, v12
	v_mov_b32_e32 v30, v7
	s_waitcnt vmcnt(6)
	v_and_b32_e32 v47, 0xffff, v1
	v_and_b32_e32 v49, 0xffff, v3
	v_lshl_or_b32 v47, v2, 16, v47
	v_lshl_or_b32 v49, v4, 16, v49
	s_waitcnt vmcnt(5)
	v_mul_f16_sdwa v52, v13, v42 dst_sel:DWORD dst_unused:UNUSED_PAD src0_sel:WORD_1 src1_sel:WORD_1
	s_waitcnt vmcnt(4)
	v_bfi_b32 v50, 0xffff, v42, v43
	v_alignbit_b32 v51, v43, v42, 16
	v_lshrrev_b32_e32 v53, 16, v43
	v_fmac_f16_e32 v52, v13, v42
	s_waitcnt vmcnt(0)
	v_mad_u64_u32 v[19:20], null, s9, 40, v[20:21]
	s_clause 0x2
	global_load_dword v20, v[25:26], off
	global_load_dword v22, v[29:30], off
	;; [unrolled: 1-line block ×3, first 2 shown]
	v_mov_b32_e32 v27, 0xffff
	v_and_b32_e32 v28, 0xffff, v13
	v_mul_u32_u24_e32 v30, 52, v0
	v_lshrrev_b32_e32 v29, 16, v2
	v_mov_b32_e32 v36, v19
	s_clause 0x3
	global_load_dword v19, v[33:34], off
	global_load_dword v23, v[37:38], off
	global_load_dword v25, v[35:36], off
	global_load_dword v26, v[39:40], off
	global_load_dwordx4 v[5:8], v18, s[6:7] offset:48
	v_lshrrev_b32_e32 v34, 16, v14
	v_and_b32_sdwa v35, v27, v13 dst_sel:DWORD dst_unused:UNUSED_PAD src0_sel:DWORD src1_sel:WORD_1
	v_lshl_or_b32 v28, v14, 16, v28
	v_lshrrev_b32_e32 v33, 16, v16
	v_and_b32_e32 v36, 0xffff, v15
	v_mul_f16_e32 v43, v34, v43
	v_lshl_or_b32 v35, v34, 16, v35
	v_and_b32_sdwa v37, v27, v15 dst_sel:DWORD dst_unused:UNUSED_PAD src0_sel:DWORD src1_sel:WORD_1
	v_and_b32_e32 v38, 0xffff, v9
	v_and_b32_sdwa v39, v27, v9 dst_sel:DWORD dst_unused:UNUSED_PAD src0_sel:DWORD src1_sel:WORD_1
	v_fma_f16 v42, v14, v53, -v43
	v_pk_mul_f16 v35, v35, v50
	v_pk_mul_f16 v50, v28, v51
	v_and_b32_e32 v40, 0xffff, v11
	v_and_b32_sdwa v41, v27, v11 dst_sel:DWORD dst_unused:UNUSED_PAD src0_sel:DWORD src1_sel:WORD_1
	v_mul_f16_sdwa v43, v15, v44 dst_sel:DWORD dst_unused:UNUSED_PAD src0_sel:WORD_1 src1_sel:WORD_1
	v_pk_fma_f16 v28, v28, v51, v35
	v_sub_f16_e32 v35, v50, v35
	v_mul_f16_sdwa v50, v9, v45 dst_sel:DWORD dst_unused:UNUSED_PAD src0_sel:WORD_1 src1_sel:WORD_1
	v_and_b32_sdwa v48, v27, v1 dst_sel:DWORD dst_unused:UNUSED_PAD src0_sel:DWORD src1_sel:WORD_1
	v_mul_f16_sdwa v51, v1, v46 dst_sel:DWORD dst_unused:UNUSED_PAD src0_sel:WORD_1 src1_sel:WORD_1
	v_alignbit_b32 v28, v42, v28, 16
	v_pack_b32_f16 v35, v52, v35
	v_lshrrev_b32_e32 v0, 16, v4
	v_and_b32_sdwa v27, v27, v3 dst_sel:DWORD dst_unused:UNUSED_PAD src0_sel:DWORD src1_sel:WORD_1
	v_lshl_or_b32 v36, v16, 16, v36
	v_lshl_or_b32 v37, v33, 16, v37
	ds_write2_b32 v30, v35, v28 offset1:1
	v_bfi_b32 v35, 0xffff, v44, v21
	v_alignbit_b32 v42, v21, v44, 16
	v_lshl_or_b32 v38, v10, 16, v38
	v_lshl_or_b32 v39, v32, 16, v39
	v_fmac_f16_e32 v50, v9, v45
	v_lshrrev_b32_e32 v28, 16, v21
	v_mul_f16_e32 v21, v33, v21
	v_lshl_or_b32 v40, v12, 16, v40
	v_lshl_or_b32 v41, v31, 16, v41
	v_fmac_f16_e32 v43, v15, v44
	v_lshl_or_b32 v48, v29, 16, v48
	v_fmac_f16_e32 v51, v1, v46
	v_lshl_or_b32 v27, v0, 16, v27
	v_pk_mul_f16 v35, v37, v35
	v_pk_mul_f16 v37, v36, v42
	v_fma_f16 v21, v16, v28, -v21
	s_load_dwordx4 s[8:11], s[2:3], 0x0
	s_mov_b32 s2, 0x13b13b14
	v_pk_fma_f16 v36, v36, v42, v35
	v_sub_f16_e32 v35, v37, v35
	s_mov_b32 s3, 0x3fb3b13b
	v_alignbit_b32 v21, v21, v36, 16
	s_waitcnt vmcnt(6)
	v_lshrrev_b32_e32 v53, 16, v22
	v_bfi_b32 v52, 0xffff, v45, v20
	v_alignbit_b32 v45, v20, v45, 16
	v_lshrrev_b32_e32 v44, 16, v20
	v_mul_f16_e32 v20, v32, v20
	s_waitcnt vmcnt(5)
	v_bfi_b32 v54, 0xffff, v24, v22
	v_alignbit_b32 v55, v22, v24, 16
	v_mul_f16_sdwa v56, v11, v24 dst_sel:DWORD dst_unused:UNUSED_PAD src0_sel:WORD_1 src1_sel:WORD_1
	s_waitcnt vmcnt(4)
	v_bfi_b32 v58, 0xffff, v46, v19
	v_alignbit_b32 v46, v19, v46, 16
	s_waitcnt vmcnt(2)
	v_bfi_b32 v60, 0xffff, v25, v23
	v_alignbit_b32 v61, v23, v25, 16
	v_mul_f16_sdwa v62, v3, v25 dst_sel:DWORD dst_unused:UNUSED_PAD src0_sel:WORD_1 src1_sel:WORD_1
	s_waitcnt vmcnt(1)
	v_lshrrev_b32_e32 v63, 16, v26
	v_pk_mul_f16 v28, v39, v52
	v_pk_mul_f16 v39, v38, v45
	v_mul_f16_e32 v22, v31, v22
	v_fma_f16 v20, v10, v44, -v20
	v_fmac_f16_e32 v56, v11, v24
	v_pk_mul_f16 v24, v41, v54
	v_pk_mul_f16 v44, v40, v55
	v_lshrrev_b32_e32 v57, 16, v19
	v_mul_f16_e32 v19, v29, v19
	v_pk_mul_f16 v41, v48, v58
	v_pk_mul_f16 v48, v47, v46
	v_lshrrev_b32_e32 v59, 16, v23
	v_mul_f16_e32 v23, v0, v23
	s_waitcnt vmcnt(0)
	v_mul_f16_sdwa v64, v5, v26 dst_sel:DWORD dst_unused:UNUSED_PAD src0_sel:WORD_1 src1_sel:DWORD
	v_fmac_f16_e32 v62, v3, v25
	v_pk_mul_f16 v25, v49, v61
	v_pk_mul_f16 v27, v27, v60
	v_mul_f16_sdwa v52, v5, v63 dst_sel:DWORD dst_unused:UNUSED_PAD src0_sel:WORD_1 src1_sel:DWORD
	v_pk_fma_f16 v37, v38, v45, v28
	v_sub_f16_e32 v28, v39, v28
	v_fma_f16 v22, v12, v53, -v22
	v_pk_fma_f16 v38, v40, v55, v24
	v_sub_f16_e32 v24, v44, v24
	v_fma_f16 v19, v2, v57, -v19
	;; [unrolled: 3-line block ×3, first 2 shown]
	v_fma_f16 v53, v5, v63, -v64
	v_pk_fma_f16 v41, v49, v61, v27
	v_sub_f16_e32 v25, v25, v27
	v_fmac_f16_e32 v52, v5, v26
	v_pack_b32_f16 v26, v43, v35
	v_alignbit_b32 v20, v20, v37, 16
	v_pack_b32_f16 v27, v50, v28
	v_alignbit_b32 v22, v22, v38, 16
	;; [unrolled: 2-line block ×4, first 2 shown]
	v_pack_b32_f16 v25, v62, v25
	v_pack_b32_f16 v35, v52, v53
	ds_write2_b32 v30, v26, v21 offset0:2 offset1:3
	ds_write2_b32 v30, v27, v20 offset0:4 offset1:5
	;; [unrolled: 1-line block ×5, first 2 shown]
	ds_write_b32 v30, v35 offset:48
	s_waitcnt lgkmcnt(0)
	s_barrier
	buffer_gl0_inv
	ds_read_b32 v35, v30
	ds_read2_b32 v[43:44], v30 offset0:1 offset1:2
	ds_read2_b32 v[19:20], v30 offset0:11 offset1:12
	;; [unrolled: 1-line block ×6, first 2 shown]
	s_waitcnt lgkmcnt(5)
	v_add_f16_e32 v45, v43, v35
	v_add_f16_sdwa v46, v43, v35 dst_sel:DWORD dst_unused:UNUSED_PAD src0_sel:WORD_1 src1_sel:WORD_1
	s_waitcnt lgkmcnt(4)
	v_add_f16_e32 v52, v20, v43
	v_sub_f16_e32 v54, v43, v20
	v_sub_f16_sdwa v55, v43, v20 dst_sel:DWORD dst_unused:UNUSED_PAD src0_sel:WORD_1 src1_sel:WORD_1
	v_add_f16_e32 v65, v45, v44
	v_add_f16_sdwa v66, v46, v44 dst_sel:DWORD dst_unused:UNUSED_PAD src0_sel:DWORD src1_sel:WORD_1
	v_add_f16_sdwa v53, v20, v43 dst_sel:DWORD dst_unused:UNUSED_PAD src0_sel:WORD_1 src1_sel:WORD_1
	v_add_f16_e32 v56, v19, v44
	v_add_f16_sdwa v57, v19, v44 dst_sel:DWORD dst_unused:UNUSED_PAD src0_sel:WORD_1 src1_sel:WORD_1
	v_sub_f16_e32 v58, v44, v19
	v_sub_f16_sdwa v59, v44, v19 dst_sel:DWORD dst_unused:UNUSED_PAD src0_sel:WORD_1 src1_sel:WORD_1
	s_waitcnt lgkmcnt(2)
	v_add_f16_e32 v60, v22, v25
	v_add_f16_sdwa v51, v22, v25 dst_sel:DWORD dst_unused:UNUSED_PAD src0_sel:WORD_1 src1_sel:WORD_1
	v_sub_f16_e32 v61, v25, v22
	v_sub_f16_sdwa v62, v25, v22 dst_sel:DWORD dst_unused:UNUSED_PAD src0_sel:WORD_1 src1_sel:WORD_1
	v_mul_f16_e32 v47, 0xb770, v55
	v_mul_f16_e32 v46, 0xba95, v55
	;; [unrolled: 1-line block ×5, first 2 shown]
	v_pack_b32_f16 v67, v54, v52
	v_mul_f16_e32 v68, 0xb770, v54
	v_mul_f16_e32 v69, 0xba95, v54
	;; [unrolled: 1-line block ×5, first 2 shown]
	v_add_f16_e32 v65, v65, v25
	v_add_f16_sdwa v25, v66, v25 dst_sel:DWORD dst_unused:UNUSED_PAD src0_sel:DWORD src1_sel:WORD_1
	v_pack_b32_f16 v55, v53, v55
	v_mul_f16_e32 v72, 0xba95, v59
	v_mul_f16_e32 v73, 0xbb7b, v59
	;; [unrolled: 1-line block ×5, first 2 shown]
	v_pack_b32_f16 v77, v58, v56
	v_mul_f16_e32 v78, 0xba95, v58
	v_mul_f16_e32 v79, 0xbb7b, v58
	v_mul_f16_e32 v80, 0xb3a8, v58
	v_mul_f16_e32 v81, 0x394e, v58
	v_mul_f16_e32 v58, 0x3bf1, v58
	v_fma_f16 v66, v52, 0x3b15, -v47
	v_fmac_f16_e32 v47, 0x3b15, v52
	v_fma_f16 v105, v52, 0x388b, -v46
	v_fmac_f16_e32 v46, 0x388b, v52
	;; [unrolled: 2-line block ×5, first 2 shown]
	v_fmamk_f16 v52, v53, 0x3b15, v68
	v_fma_f16 v68, v53, 0x3b15, -v68
	v_fmamk_f16 v109, v53, 0x388b, v69
	v_fma_f16 v69, v53, 0x388b, -v69
	v_fmamk_f16 v110, v53, 0x2fb7, v70
	v_fma_f16 v70, v53, 0x2fb7, -v70
	v_fmamk_f16 v111, v53, 0xb5ac, v71
	v_fma_f16 v71, v53, 0xb5ac, -v71
	v_fmamk_f16 v112, v53, 0xb9fd, v54
	v_fma_f16 v53, v53, 0xb9fd, -v54
	v_add_f16_e32 v65, v65, v26
	v_add_f16_sdwa v25, v25, v26 dst_sel:DWORD dst_unused:UNUSED_PAD src0_sel:DWORD src1_sel:WORD_1
	s_waitcnt lgkmcnt(0)
	v_add_f16_e32 v41, v28, v23
	v_add_f16_sdwa v40, v28, v23 dst_sel:DWORD dst_unused:UNUSED_PAD src0_sel:WORD_1 src1_sel:WORD_1
	v_sub_f16_e32 v43, v23, v28
	v_sub_f16_sdwa v42, v23, v28 dst_sel:DWORD dst_unused:UNUSED_PAD src0_sel:WORD_1 src1_sel:WORD_1
	v_pack_b32_f16 v59, v57, v59
	v_mul_f16_e32 v82, 0xbbf1, v62
	v_mul_f16_e32 v83, 0xb3a8, v62
	;; [unrolled: 1-line block ×5, first 2 shown]
	v_pack_b32_f16 v87, v61, v60
	v_mul_f16_e32 v88, 0xbbf1, v61
	v_mul_f16_e32 v89, 0xb3a8, v61
	v_mul_f16_e32 v90, 0x3b7b, v61
	v_mul_f16_e32 v91, 0x3770, v61
	v_mul_f16_e32 v61, 0xba95, v61
	v_fma_f16 v54, v56, 0x388b, -v72
	v_fmac_f16_e32 v72, 0x388b, v56
	v_fma_f16 v113, v56, 0xb5ac, -v73
	v_fmac_f16_e32 v73, 0xb5ac, v56
	;; [unrolled: 2-line block ×5, first 2 shown]
	v_fmamk_f16 v56, v57, 0x388b, v78
	v_fma_f16 v78, v57, 0x388b, -v78
	v_fmamk_f16 v117, v57, 0xb5ac, v79
	v_fma_f16 v79, v57, 0xb5ac, -v79
	;; [unrolled: 2-line block ×5, first 2 shown]
	v_add_f16_sdwa v53, v53, v35 dst_sel:DWORD dst_unused:UNUSED_PAD src0_sel:DWORD src1_sel:WORD_1
	v_add_f16_e32 v65, v65, v23
	v_add_f16_sdwa v23, v25, v23 dst_sel:DWORD dst_unused:UNUSED_PAD src0_sel:DWORD src1_sel:WORD_1
	v_add_f16_e32 v50, v21, v26
	v_sub_f16_e32 v63, v26, v21
	v_sub_f16_sdwa v64, v26, v21 dst_sel:DWORD dst_unused:UNUSED_PAD src0_sel:WORD_1 src1_sel:WORD_1
	v_pack_b32_f16 v62, v51, v62
	v_fma_f16 v58, v60, 0x2fb7, -v82
	v_fmac_f16_e32 v82, 0x2fb7, v60
	v_fma_f16 v121, v60, 0xbbc4, -v83
	v_fmac_f16_e32 v83, 0xbbc4, v60
	v_fma_f16 v122, v60, 0xb5ac, -v84
	v_fmac_f16_e32 v84, 0xb5ac, v60
	v_fma_f16 v123, v60, 0x3b15, -v85
	v_fmac_f16_e32 v85, 0x3b15, v60
	v_fma_f16 v124, v60, 0x388b, -v86
	v_fmac_f16_e32 v86, 0x388b, v60
	v_fmamk_f16 v60, v51, 0x2fb7, v88
	v_fma_f16 v88, v51, 0x2fb7, -v88
	v_fmamk_f16 v125, v51, 0xbbc4, v89
	v_fma_f16 v89, v51, 0xbbc4, -v89
	;; [unrolled: 2-line block ×5, first 2 shown]
	v_add_f16_e32 v53, v57, v53
	v_add_f16_e32 v57, v65, v24
	v_add_f16_sdwa v23, v23, v24 dst_sel:DWORD dst_unused:UNUSED_PAD src0_sel:DWORD src1_sel:WORD_1
	v_add_f16_sdwa v49, v21, v26 dst_sel:DWORD dst_unused:UNUSED_PAD src0_sel:WORD_1 src1_sel:WORD_1
	v_mul_f16_e32 v92, 0xbb7b, v64
	v_mul_f16_e32 v93, 0x394e, v64
	;; [unrolled: 1-line block ×5, first 2 shown]
	v_pack_b32_f16 v97, v63, v50
	v_mul_f16_e32 v98, 0xbb7b, v63
	v_mul_f16_e32 v99, 0x394e, v63
	v_mul_f16_e32 v100, 0x3770, v63
	v_mul_f16_e32 v101, 0xbbf1, v63
	v_mul_f16_e32 v63, 0x33a8, v63
	v_add_f16_e32 v51, v51, v53
	v_add_f16_e32 v53, v57, v27
	v_add_f16_sdwa v23, v23, v27 dst_sel:DWORD dst_unused:UNUSED_PAD src0_sel:DWORD src1_sel:WORD_1
	v_pack_b32_f16 v64, v49, v64
	v_fma_f16 v61, v50, 0xb5ac, -v92
	v_fmac_f16_e32 v92, 0xb5ac, v50
	v_fma_f16 v129, v50, 0xb9fd, -v93
	v_fmac_f16_e32 v93, 0xb9fd, v50
	;; [unrolled: 2-line block ×5, first 2 shown]
	v_fmamk_f16 v50, v49, 0xb5ac, v98
	v_fma_f16 v98, v49, 0xb5ac, -v98
	v_fmamk_f16 v133, v49, 0xb9fd, v99
	v_fma_f16 v99, v49, 0xb9fd, -v99
	;; [unrolled: 2-line block ×5, first 2 shown]
	v_pk_mul_f16 v63, 0xbbc4b3a8, v67
	v_add_f16_e32 v53, v53, v28
	v_add_f16_sdwa v23, v23, v28 dst_sel:DWORD dst_unused:UNUSED_PAD src0_sel:DWORD src1_sel:WORD_1
	v_pk_mul_f16 v67, 0x3b153770, v77
	v_pk_mul_f16 v77, 0xb9fdb94e, v87
	;; [unrolled: 1-line block ×3, first 2 shown]
	v_pk_fma_f16 v26, 0xb3a8bbc4, v55, v63 neg_lo:[0,1,0] neg_hi:[0,1,0]
	v_pk_fma_f16 v97, 0xb3a8bbc4, v55, v63
	v_pk_fma_f16 v55, 0xb3a8bbc4, v55, v63 neg_lo:[0,0,1] neg_hi:[0,0,1]
	v_add_f16_e32 v53, v53, v21
	v_add_f16_sdwa v21, v23, v21 dst_sel:DWORD dst_unused:UNUSED_PAD src0_sel:DWORD src1_sel:WORD_1
	v_pk_fma_f16 v63, 0x37703b15, v59, v67 neg_lo:[0,1,0] neg_hi:[0,1,0]
	v_pk_fma_f16 v137, 0x37703b15, v59, v67
	v_pk_fma_f16 v59, 0x37703b15, v59, v67 neg_lo:[0,0,1] neg_hi:[0,0,1]
	v_add_f16_e32 v66, v66, v35
	v_add_f16_sdwa v52, v52, v35 dst_sel:DWORD dst_unused:UNUSED_PAD src0_sel:DWORD src1_sel:WORD_1
	v_add_f16_e32 v47, v47, v35
	v_add_f16_sdwa v68, v68, v35 dst_sel:DWORD dst_unused:UNUSED_PAD src0_sel:DWORD src1_sel:WORD_1
	;; [unrolled: 2-line block ×9, first 2 shown]
	v_add_f16_e32 v48, v48, v35
	v_pk_add_f16 v26, v26, v35 op_sel:[0,1] op_sel_hi:[1,0]
	v_pk_add_f16 v97, v97, v35 op_sel:[0,1] op_sel_hi:[1,0]
	;; [unrolled: 1-line block ×3, first 2 shown]
	v_add_f16_e32 v53, v53, v22
	v_add_f16_sdwa v21, v21, v22 dst_sel:DWORD dst_unused:UNUSED_PAD src0_sel:DWORD src1_sel:WORD_1
	v_add_f16_e32 v37, v27, v24
	v_add_f16_sdwa v36, v27, v24 dst_sel:DWORD dst_unused:UNUSED_PAD src0_sel:WORD_1 src1_sel:WORD_1
	v_sub_f16_e32 v39, v24, v27
	v_sub_f16_sdwa v38, v24, v27 dst_sel:DWORD dst_unused:UNUSED_PAD src0_sel:WORD_1 src1_sel:WORD_1
	v_pk_fma_f16 v67, 0xb94eb9fd, v62, v77 neg_lo:[0,1,0] neg_hi:[0,1,0]
	v_pk_fma_f16 v138, 0xb94eb9fd, v62, v77
	v_pk_fma_f16 v62, 0xb94eb9fd, v62, v77 neg_lo:[0,0,1] neg_hi:[0,0,1]
	v_add_f16_e32 v52, v56, v52
	v_add_f16_e32 v56, v113, v105
	v_pk_add_f16 v24, v63, v26
	v_pk_add_f16 v26, v137, v97
	;; [unrolled: 1-line block ×3, first 2 shown]
	v_add_f16_e32 v53, v53, v19
	v_add_f16_sdwa v19, v21, v19 dst_sel:DWORD dst_unused:UNUSED_PAD src0_sel:DWORD src1_sel:WORD_1
	v_mul_f16_e32 v103, 0xb94e, v43
	v_mul_f16_e32 v104, 0x3bf1, v42
	v_pk_fma_f16 v77, 0x3a95388b, v64, v87 neg_lo:[0,1,0] neg_hi:[0,1,0]
	v_pk_fma_f16 v139, 0x3a95388b, v64, v87
	v_pk_fma_f16 v64, 0x3a95388b, v64, v87 neg_lo:[0,0,1] neg_hi:[0,0,1]
	v_add_f16_e32 v25, v54, v66
	v_add_f16_e32 v54, v78, v68
	v_add_f16_e32 v66, v117, v109
	v_add_f16_e32 v68, v79, v69
	v_add_f16_e32 v52, v60, v52
	v_add_f16_e32 v56, v121, v56
	v_pk_add_f16 v24, v67, v24
	v_pk_add_f16 v26, v138, v26
	v_pk_add_f16 v27, v62, v35
	v_add_f16_e32 v49, v49, v51
	v_add_f16_e32 v51, v53, v20
	v_add_f16_sdwa v19, v19, v20 dst_sel:WORD_1 dst_unused:UNUSED_PAD src0_sel:DWORD src1_sel:WORD_1
	v_fmamk_f16 v55, v40, 0xb9fd, v103
	v_add_f16_e32 v69, v114, v106
	v_add_f16_e32 v45, v74, v45
	;; [unrolled: 1-line block ×9, first 2 shown]
	v_pk_add_f16 v20, v77, v24
	v_pk_add_f16 v24, v139, v26
	;; [unrolled: 1-line block ×3, first 2 shown]
	v_or_b32_sdwa v19, v19, v51 dst_sel:DWORD dst_unused:UNUSED_PAD src0_sel:DWORD src1_sel:WORD_0
	v_fma_f16 v27, v41, 0x2fb7, -v104
	v_mul_f16_e32 v51, 0x3bf1, v43
	v_add_f16_e32 v47, v72, v47
	v_add_f16_e32 v46, v73, v46
	;; [unrolled: 1-line block ×13, first 2 shown]
	v_mul_f16_e32 v52, 0xba95, v42
	v_fmamk_f16 v53, v40, 0x2fb7, v51
	v_fma_f16 v51, v40, 0x2fb7, -v51
	v_mul_f16_e32 v55, 0xba95, v43
	v_add_f16_e32 v74, v119, v111
	v_add_f16_e32 v71, v81, v71
	;; [unrolled: 1-line block ×9, first 2 shown]
	v_fma_f16 v61, v41, 0x388b, -v52
	v_add_f16_e32 v53, v53, v54
	v_add_f16_e32 v51, v51, v56
	v_fmamk_f16 v54, v40, 0x388b, v55
	v_fmac_f16_e32 v52, 0x388b, v41
	v_mul_f16_e32 v56, 0x33a8, v42
	v_fma_f16 v55, v40, 0x388b, -v55
	v_mul_f16_e32 v102, 0xb94e, v42
	v_add_f16_e32 v75, v116, v108
	v_add_f16_e32 v78, v120, v112
	;; [unrolled: 1-line block ×9, first 2 shown]
	v_mul_f16_e32 v61, 0x33a8, v43
	v_add_f16_e32 v45, v52, v45
	v_fma_f16 v52, v41, 0xbbc4, -v56
	v_fmac_f16_e32 v56, 0xbbc4, v41
	v_add_f16_e32 v23, v55, v23
	v_mul_f16_e32 v55, 0x3770, v42
	v_fma_f16 v87, v41, 0xb9fd, -v102
	v_fmac_f16_e32 v102, 0xb9fd, v41
	v_add_f16_e32 v47, v82, v47
	v_add_f16_e32 v70, v124, v75
	;; [unrolled: 1-line block ×6, first 2 shown]
	v_fmac_f16_e32 v104, 0x2fb7, v41
	v_add_f16_e32 v54, v54, v57
	v_fmamk_f16 v57, v40, 0xbbc4, v61
	v_add_f16_e32 v52, v52, v58
	v_add_f16_e32 v22, v56, v22
	v_mul_f16_e32 v56, 0x3770, v43
	v_fma_f16 v58, v41, 0x3b15, -v55
	v_fmac_f16_e32 v55, 0x3b15, v41
	v_pack_b32_f16 v41, v43, v41
	v_fma_f16 v43, v40, 0xbbc4, -v61
	v_fma_f16 v103, v40, 0xb9fd, -v103
	v_add_f16_e32 v47, v92, v47
	v_add_f16_e32 v60, v132, v70
	v_add_f16_e32 v21, v136, v71
	v_add_f16_e32 v48, v96, v48
	v_add_f16_e32 v57, v57, v59
	v_fmamk_f16 v59, v40, 0x3b15, v56
	v_fma_f16 v56, v40, 0x3b15, -v56
	v_pack_b32_f16 v40, v40, v42
	v_pk_mul_f16 v41, 0xb5acbb7b, v41
	v_add_f16_e32 v42, v43, v44
	v_mul_f16_e32 v43, 0xb3a8, v38
	v_add_f16_e32 v47, v102, v47
	v_add_f16_e32 v44, v58, v60
	;; [unrolled: 1-line block ×3, first 2 shown]
	v_pk_fma_f16 v58, 0xbb7bb5ac, v40, v41 neg_lo:[0,1,0] neg_hi:[0,1,0]
	v_mul_f16_e32 v59, 0xb3a8, v39
	v_add_f16_e32 v48, v55, v48
	v_fma_f16 v55, v37, 0xbbc4, -v43
	v_add_f16_e32 v49, v56, v49
	v_pk_fma_f16 v56, 0xbb7bb5ac, v40, v41
	v_fmac_f16_e32 v43, 0xbbc4, v37
	v_pk_fma_f16 v40, 0xbb7bb5ac, v40, v41 neg_lo:[0,0,1] neg_hi:[0,0,1]
	v_mul_f16_e32 v41, 0x3770, v38
	v_add_f16_e32 v46, v83, v46
	v_add_f16_e32 v25, v87, v25
	v_pk_add_f16 v20, v58, v20
	v_fmamk_f16 v58, v36, 0xbbc4, v59
	v_pk_add_f16 v24, v56, v24
	v_mul_f16_e32 v56, 0x3770, v39
	v_pk_add_f16 v26, v40, v26
	v_fma_f16 v40, v37, 0x3b15, -v41
	v_add_f16_e32 v43, v43, v47
	v_mul_f16_e32 v47, 0xb94e, v39
	v_add_f16_e32 v46, v93, v46
	v_add_f16_e32 v50, v103, v50
	v_fma_f16 v59, v36, 0xbbc4, -v59
	v_add_f16_e32 v25, v55, v25
	v_fmamk_f16 v55, v36, 0x3b15, v56
	v_add_f16_e32 v35, v58, v35
	v_mul_f16_e32 v58, 0xb94e, v38
	v_add_f16_e32 v27, v40, v27
	v_fmamk_f16 v40, v36, 0xb9fd, v47
	v_add_f16_e32 v46, v104, v46
	v_fmac_f16_e32 v41, 0x3b15, v37
	v_fma_f16 v56, v36, 0x3b15, -v56
	v_add_f16_e32 v50, v59, v50
	v_fma_f16 v59, v37, 0xb9fd, -v58
	v_fmac_f16_e32 v58, 0xb9fd, v37
	v_add_f16_e32 v53, v55, v53
	v_mul_f16_e32 v55, 0x3a95, v38
	v_fma_f16 v47, v36, 0xb9fd, -v47
	v_add_f16_e32 v40, v40, v54
	v_mul_f16_e32 v54, 0xbb7b, v38
	v_add_f16_e32 v41, v41, v46
	v_mul_f16_e32 v46, 0x3a95, v39
	v_add_f16_e32 v51, v56, v51
	v_fma_f16 v56, v37, 0x388b, -v55
	v_fmac_f16_e32 v55, 0x388b, v37
	v_add_f16_e32 v45, v58, v45
	v_mul_f16_e32 v58, 0xbb7b, v39
	v_add_f16_e32 v23, v47, v23
	v_fma_f16 v47, v37, 0xb5ac, -v54
	v_fmac_f16_e32 v54, 0xb5ac, v37
	v_pack_b32_f16 v37, v39, v37
	v_add_f16_e32 v28, v59, v28
	v_fmamk_f16 v59, v36, 0x388b, v46
	v_fma_f16 v46, v36, 0x388b, -v46
	v_add_f16_e32 v52, v56, v52
	v_fmamk_f16 v56, v36, 0xb5ac, v58
	v_fma_f16 v58, v36, 0xb5ac, -v58
	v_pack_b32_f16 v36, v36, v38
	v_pk_mul_f16 v37, 0x2fb73bf1, v37
	v_add_f16_e32 v38, v47, v44
	v_add_f16_e32 v44, v54, v48
	;; [unrolled: 1-line block ×4, first 2 shown]
	v_pk_fma_f16 v47, 0x3bf12fb7, v36, v37 neg_lo:[0,1,0] neg_hi:[0,1,0]
	v_pk_fma_f16 v48, 0x3bf12fb7, v36, v37
	v_pk_fma_f16 v36, 0x3bf12fb7, v36, v37 neg_lo:[0,0,1] neg_hi:[0,0,1]
	v_pack_b32_f16 v27, v27, v53
	v_pack_b32_f16 v25, v25, v35
	v_pk_add_f16 v20, v47, v20
	v_pk_add_f16 v24, v48, v24
	v_pk_add_f16 v26, v36, v26
	v_add_f16_e32 v22, v55, v22
	v_add_f16_e32 v42, v46, v42
	;; [unrolled: 1-line block ×3, first 2 shown]
	v_pack_b32_f16 v35, v52, v39
	v_pack_b32_f16 v28, v28, v40
	;; [unrolled: 1-line block ×3, first 2 shown]
	ds_write2_b32 v30, v25, v27 offset0:1 offset1:2
	ds_write2_b32 v30, v28, v35 offset0:3 offset1:4
	v_alignbit_b32 v25, v26, v24, 16
	v_alignbit_b32 v20, v24, v20, 16
	v_pack_b32_f16 v22, v22, v42
	v_pack_b32_f16 v24, v44, v46
	;; [unrolled: 1-line block ×5, first 2 shown]
	ds_write2_b32 v30, v19, v21 offset1:5
	ds_write2_b32 v30, v20, v25 offset0:6 offset1:7
	ds_write2_b32 v30, v24, v22 offset0:8 offset1:9
	;; [unrolled: 1-line block ×3, first 2 shown]
	ds_write_b32 v30, v27 offset:48
	s_waitcnt lgkmcnt(0)
	s_barrier
	buffer_gl0_inv
	s_clause 0x2
	global_load_dwordx4 v[19:22], v18, s[6:7] offset:64
	global_load_dwordx4 v[23:26], v18, s[6:7] offset:80
	global_load_dwordx2 v[27:28], v18, s[6:7] offset:96
	ds_read2_b32 v[35:36], v30 offset1:1
	ds_read2_b32 v[38:39], v30 offset0:2 offset1:3
	ds_read2_b32 v[40:41], v30 offset0:4 offset1:5
	ds_read2_b32 v[42:43], v30 offset0:6 offset1:7
	ds_read2_b32 v[44:45], v30 offset0:8 offset1:9
	ds_read2_b32 v[46:47], v30 offset0:10 offset1:11
	ds_read_b32 v18, v30 offset:48
	v_mov_b32_e32 v37, 0xb770
	s_waitcnt lgkmcnt(6)
	v_lshrrev_b32_e32 v48, 16, v35
	v_lshrrev_b32_e32 v49, 16, v36
	v_mul_f16_sdwa v50, v35, v6 dst_sel:DWORD dst_unused:UNUSED_PAD src0_sel:DWORD src1_sel:WORD_1
	v_mul_f16_sdwa v51, v36, v7 dst_sel:DWORD dst_unused:UNUSED_PAD src0_sel:DWORD src1_sel:WORD_1
	s_waitcnt lgkmcnt(5)
	v_lshrrev_b32_e32 v52, 16, v38
	v_mul_f16_sdwa v61, v48, v6 dst_sel:DWORD dst_unused:UNUSED_PAD src0_sel:DWORD src1_sel:WORD_1
	v_mul_f16_sdwa v60, v49, v7 dst_sel:DWORD dst_unused:UNUSED_PAD src0_sel:DWORD src1_sel:WORD_1
	v_fmac_f16_e32 v50, v48, v6
	v_fmac_f16_e32 v51, v49, v7
	v_mul_f16_sdwa v54, v38, v8 dst_sel:DWORD dst_unused:UNUSED_PAD src0_sel:DWORD src1_sel:WORD_1
	v_fma_f16 v6, v35, v6, -v61
	v_fma_f16 v7, v36, v7, -v60
	v_mul_f16_sdwa v48, v52, v8 dst_sel:DWORD dst_unused:UNUSED_PAD src0_sel:DWORD src1_sel:WORD_1
	v_lshrrev_b32_e32 v53, 16, v39
	s_waitcnt lgkmcnt(4)
	v_lshrrev_b32_e32 v55, 16, v40
	v_pack_b32_f16 v6, v6, v50
	v_pack_b32_f16 v7, v7, v51
	v_lshrrev_b32_e32 v56, 16, v41
	s_waitcnt lgkmcnt(3)
	v_lshrrev_b32_e32 v57, 16, v42
	v_lshrrev_b32_e32 v58, 16, v43
	v_fmac_f16_e32 v54, v52, v8
	v_fma_f16 v8, v38, v8, -v48
	s_waitcnt lgkmcnt(2)
	v_lshrrev_b32_e32 v59, 16, v44
	v_lshrrev_b32_e32 v35, 16, v45
	s_waitcnt lgkmcnt(1)
	v_lshrrev_b32_e32 v36, 16, v46
	v_lshrrev_b32_e32 v38, 16, v47
	s_waitcnt lgkmcnt(0)
	v_lshrrev_b32_e32 v48, 16, v18
	ds_write2_b32 v30, v6, v7 offset1:1
	v_pack_b32_f16 v8, v8, v54
	s_waitcnt vmcnt(2)
	v_mul_f16_sdwa v6, v53, v19 dst_sel:DWORD dst_unused:UNUSED_PAD src0_sel:DWORD src1_sel:WORD_1
	v_mul_f16_sdwa v50, v39, v19 dst_sel:DWORD dst_unused:UNUSED_PAD src0_sel:DWORD src1_sel:WORD_1
	;; [unrolled: 1-line block ×8, first 2 shown]
	s_waitcnt vmcnt(1)
	v_mul_f16_sdwa v61, v58, v23 dst_sel:DWORD dst_unused:UNUSED_PAD src0_sel:DWORD src1_sel:WORD_1
	v_mul_f16_sdwa v62, v43, v23 dst_sel:DWORD dst_unused:UNUSED_PAD src0_sel:DWORD src1_sel:WORD_1
	;; [unrolled: 1-line block ×8, first 2 shown]
	s_waitcnt vmcnt(0)
	v_mul_f16_sdwa v69, v38, v27 dst_sel:DWORD dst_unused:UNUSED_PAD src0_sel:DWORD src1_sel:WORD_1
	v_mul_f16_sdwa v70, v47, v27 dst_sel:DWORD dst_unused:UNUSED_PAD src0_sel:DWORD src1_sel:WORD_1
	;; [unrolled: 1-line block ×4, first 2 shown]
	v_fma_f16 v6, v39, v19, -v6
	v_fmac_f16_e32 v50, v53, v19
	v_fma_f16 v7, v40, v20, -v7
	v_fma_f16 v39, v41, v21, -v49
	v_fmac_f16_e32 v51, v55, v20
	v_fmac_f16_e32 v52, v56, v21
	;; [unrolled: 1-line block ×3, first 2 shown]
	v_fma_f16 v19, v42, v22, -v54
	v_fma_f16 v20, v43, v23, -v61
	v_fmac_f16_e32 v62, v58, v23
	v_fma_f16 v21, v44, v24, -v63
	v_fma_f16 v22, v45, v25, -v65
	v_fmac_f16_e32 v64, v59, v24
	v_fmac_f16_e32 v66, v35, v25
	v_fma_f16 v23, v46, v26, -v67
	v_fmac_f16_e32 v68, v36, v26
	v_fma_f16 v24, v47, v27, -v69
	;; [unrolled: 2-line block ×3, first 2 shown]
	v_fmac_f16_e32 v72, v48, v28
	v_pack_b32_f16 v6, v6, v50
	v_pack_b32_f16 v25, v39, v52
	;; [unrolled: 1-line block ×10, first 2 shown]
	ds_write2_b32 v30, v8, v6 offset0:2 offset1:3
	ds_write2_b32 v30, v7, v25 offset0:4 offset1:5
	;; [unrolled: 1-line block ×5, first 2 shown]
	ds_write_b32 v30, v18 offset:48
	s_waitcnt lgkmcnt(0)
	s_barrier
	buffer_gl0_inv
	ds_read2_b32 v[18:19], v30 offset1:5
	ds_read2_b32 v[38:39], v30 offset0:1 offset1:2
	ds_read_b32 v35, v30 offset:48
	ds_read2_b32 v[6:7], v30 offset0:10 offset1:11
	ds_read2_b32 v[20:21], v30 offset0:8 offset1:9
	;; [unrolled: 1-line block ×4, first 2 shown]
	v_mov_b32_e32 v22, 0x3b15
	v_mov_b32_e32 v25, 0xba95
	;; [unrolled: 1-line block ×14, first 2 shown]
	s_waitcnt lgkmcnt(5)
	v_add_f16_e32 v49, v38, v18
	v_add_f16_sdwa v50, v38, v18 dst_sel:DWORD dst_unused:UNUSED_PAD src0_sel:WORD_1 src1_sel:WORD_1
	s_waitcnt lgkmcnt(4)
	v_pk_add_f16 v51, v35, v38
	v_pk_add_f16 v38, v38, v35 neg_lo:[0,1] neg_hi:[0,1]
	s_waitcnt lgkmcnt(3)
	v_pk_add_f16 v52, v7, v39
	v_pk_add_f16 v53, v39, v7 neg_lo:[0,1] neg_hi:[0,1]
	v_add_f16_e32 v49, v49, v39
	v_add_f16_sdwa v39, v50, v39 dst_sel:DWORD dst_unused:UNUSED_PAD src0_sel:DWORD src1_sel:WORD_1
	v_mul_f16_sdwa v37, v38, v37 dst_sel:DWORD dst_unused:UNUSED_PAD src0_sel:WORD_1 src1_sel:DWORD
	v_mul_f16_sdwa v50, v51, v22 dst_sel:DWORD dst_unused:UNUSED_PAD src0_sel:WORD_1 src1_sel:DWORD
	;; [unrolled: 1-line block ×10, first 2 shown]
	v_pk_mul_f16 v68, 0xbbc4, v51 op_sel_hi:[0,1]
	s_waitcnt lgkmcnt(0)
	v_add_f16_e32 v49, v49, v40
	v_add_f16_sdwa v39, v39, v40 dst_sel:DWORD dst_unused:UNUSED_PAD src0_sel:DWORD src1_sel:WORD_1
	v_fmamk_f16 v84, v51, 0x3b15, v37
	v_fma_f16 v37, v51, 0x3b15, -v37
	v_fmamk_f16 v85, v51, 0x388b, v60
	v_fma_f16 v60, v51, 0x388b, -v60
	;; [unrolled: 2-line block ×5, first 2 shown]
	v_fmamk_f16 v63, v38, 0x3770, v50
	v_fmac_f16_e32 v50, 0xb770, v38
	v_fmamk_f16 v89, v38, 0x3a95, v64
	v_fmac_f16_e32 v64, 0xba95, v38
	;; [unrolled: 2-line block ×5, first 2 shown]
	v_pk_fma_f16 v93, 0xb3a8, v38, v68 op_sel:[0,0,1] op_sel_hi:[0,1,0]
	v_pk_fma_f16 v38, 0xb3a8, v38, v68 op_sel:[0,0,1] op_sel_hi:[0,1,0] neg_lo:[0,1,0] neg_hi:[0,1,0]
	v_add_f16_e32 v49, v49, v41
	v_add_f16_sdwa v39, v39, v41 dst_sel:DWORD dst_unused:UNUSED_PAD src0_sel:DWORD src1_sel:WORD_1
	v_pk_add_f16 v54, v20, v19
	v_pk_add_f16 v55, v19, v20 neg_lo:[0,1] neg_hi:[0,1]
	v_pk_add_f16 v56, v21, v41
	v_pk_add_f16 v57, v41, v21 neg_lo:[0,1] neg_hi:[0,1]
	v_add_f16_e32 v41, v84, v18
	v_add_f16_sdwa v63, v63, v18 dst_sel:DWORD dst_unused:UNUSED_PAD src0_sel:DWORD src1_sel:WORD_1
	v_add_f16_e32 v37, v37, v18
	v_add_f16_sdwa v50, v50, v18 dst_sel:DWORD dst_unused:UNUSED_PAD src0_sel:DWORD src1_sel:WORD_1
	;; [unrolled: 2-line block ×10, first 2 shown]
	v_pk_add_f16 v92, v93, v18 op_sel:[0,1] op_sel_hi:[1,0]
	v_pk_add_f16 v18, v38, v18 op_sel:[0,1] op_sel_hi:[1,0]
	v_add_f16_e32 v38, v49, v19
	v_add_f16_sdwa v19, v39, v19 dst_sel:DWORD dst_unused:UNUSED_PAD src0_sel:DWORD src1_sel:WORD_1
	v_pk_add_f16 v58, v6, v40
	v_mul_f16_sdwa v69, v53, v25 dst_sel:DWORD dst_unused:UNUSED_PAD src0_sel:WORD_1 src1_sel:DWORD
	v_mul_f16_sdwa v70, v53, v8 dst_sel:DWORD dst_unused:UNUSED_PAD src0_sel:WORD_1 src1_sel:DWORD
	v_add_f16_e32 v38, v38, v42
	v_add_f16_sdwa v19, v19, v42 dst_sel:DWORD dst_unused:UNUSED_PAD src0_sel:DWORD src1_sel:WORD_1
	v_mul_f16_sdwa v71, v53, v44 dst_sel:DWORD dst_unused:UNUSED_PAD src0_sel:WORD_1 src1_sel:DWORD
	v_mul_f16_sdwa v72, v53, v45 dst_sel:DWORD dst_unused:UNUSED_PAD src0_sel:WORD_1 src1_sel:DWORD
	v_mul_f16_sdwa v73, v53, v46 dst_sel:DWORD dst_unused:UNUSED_PAD src0_sel:WORD_1 src1_sel:DWORD
	v_add_f16_e32 v38, v38, v43
	v_add_f16_sdwa v19, v19, v43 dst_sel:DWORD dst_unused:UNUSED_PAD src0_sel:DWORD src1_sel:WORD_1
	v_mul_f16_sdwa v74, v52, v24 dst_sel:DWORD dst_unused:UNUSED_PAD src0_sel:WORD_1 src1_sel:DWORD
	v_mul_f16_sdwa v75, v52, v36 dst_sel:DWORD dst_unused:UNUSED_PAD src0_sel:WORD_1 src1_sel:DWORD
	v_pk_add_f16 v59, v40, v6 neg_lo:[0,1] neg_hi:[0,1]
	v_add_f16_e32 v38, v38, v20
	v_add_f16_sdwa v19, v19, v20 dst_sel:DWORD dst_unused:UNUSED_PAD src0_sel:DWORD src1_sel:WORD_1
	v_mul_f16_sdwa v76, v52, v47 dst_sel:DWORD dst_unused:UNUSED_PAD src0_sel:WORD_1 src1_sel:DWORD
	v_mul_f16_sdwa v77, v52, v27 dst_sel:DWORD dst_unused:UNUSED_PAD src0_sel:WORD_1 src1_sel:DWORD
	;; [unrolled: 1-line block ×3, first 2 shown]
	v_add_f16_e32 v38, v38, v21
	v_add_f16_sdwa v19, v19, v21 dst_sel:DWORD dst_unused:UNUSED_PAD src0_sel:DWORD src1_sel:WORD_1
	v_pk_mul_f16 v79, 0x3b15, v52 op_sel_hi:[0,1]
	v_mul_f16_sdwa v81, v58, v26 dst_sel:DWORD dst_unused:UNUSED_PAD src0_sel:WORD_1 src1_sel:DWORD
	v_mul_f16_sdwa v83, v58, v47 dst_sel:DWORD dst_unused:UNUSED_PAD src0_sel:WORD_1 src1_sel:DWORD
	v_fmamk_f16 v40, v52, 0x388b, v69
	v_fma_f16 v68, v52, 0x388b, -v69
	v_fmamk_f16 v69, v52, 0xb5ac, v70
	v_fma_f16 v70, v52, 0xb5ac, -v70
	;; [unrolled: 2-line block ×5, first 2 shown]
	v_fmamk_f16 v73, v53, 0x3a95, v74
	v_fmac_f16_e32 v74, 0xba95, v53
	v_fmamk_f16 v97, v53, 0x3b7b, v75
	v_add_f16_e32 v38, v38, v6
	v_add_f16_sdwa v6, v19, v6 dst_sel:DWORD dst_unused:UNUSED_PAD src0_sel:DWORD src1_sel:WORD_1
	v_mul_f16_sdwa v82, v59, v44 dst_sel:DWORD dst_unused:UNUSED_PAD src0_sel:WORD_1 src1_sel:DWORD
	v_mul_f16_sdwa v48, v59, v48 dst_sel:DWORD dst_unused:UNUSED_PAD src0_sel:WORD_1 src1_sel:DWORD
	v_fmac_f16_e32 v75, 0xbb7b, v53
	v_fmamk_f16 v98, v53, 0x33a8, v76
	v_fmac_f16_e32 v76, 0xb3a8, v53
	v_fmamk_f16 v99, v53, 0xb94e, v77
	;; [unrolled: 2-line block ×3, first 2 shown]
	v_fmac_f16_e32 v78, 0x3bf1, v53
	v_pk_fma_f16 v101, 0x3770, v53, v79 op_sel:[0,0,1] op_sel_hi:[0,1,0]
	v_pk_fma_f16 v53, 0x3770, v53, v79 op_sel:[0,0,1] op_sel_hi:[0,1,0] neg_lo:[0,1,0] neg_hi:[0,1,0]
	v_fmamk_f16 v102, v59, 0x3bf1, v81
	v_fmac_f16_e32 v81, 0xbbf1, v59
	v_fmamk_f16 v104, v59, 0x33a8, v83
	v_add_f16_e32 v39, v40, v41
	v_add_f16_e32 v40, v73, v63
	;; [unrolled: 1-line block ×5, first 2 shown]
	v_add_f16_sdwa v6, v6, v7 dst_sel:DWORD dst_unused:UNUSED_PAD src0_sel:DWORD src1_sel:WORD_1
	v_fmamk_f16 v103, v58, 0xbbc4, v82
	v_fma_f16 v82, v58, 0xbbc4, -v82
	v_fmac_f16_e32 v83, 0xb3a8, v59
	v_add_f16_e32 v49, v69, v84
	v_add_f16_e32 v60, v70, v60
	;; [unrolled: 1-line block ×4, first 2 shown]
	v_pk_add_f16 v18, v53, v18
	v_add_f16_e32 v19, v102, v40
	v_add_f16_e32 v40, v81, v41
	;; [unrolled: 1-line block ×4, first 2 shown]
	v_add_f16_sdwa v6, v6, v35 dst_sel:WORD_1 dst_unused:UNUSED_PAD src0_sel:DWORD src1_sel:WORD_1
	v_fmamk_f16 v35, v58, 0xb5ac, v48
	v_mul_f16_sdwa v50, v58, v36 dst_sel:DWORD dst_unused:UNUSED_PAD src0_sel:WORD_1 src1_sel:DWORD
	v_mov_b32_e32 v53, 0x3770
	v_add_f16_e32 v61, v71, v61
	v_add_f16_e32 v65, v76, v65
	;; [unrolled: 1-line block ×5, first 2 shown]
	v_or_b32_sdwa v6, v6, v38 dst_sel:DWORD dst_unused:UNUSED_PAD src0_sel:DWORD src1_sel:WORD_0
	v_add_f16_e32 v35, v35, v64
	v_fmamk_f16 v38, v59, 0xbb7b, v50
	v_mul_f16_sdwa v63, v59, v53 dst_sel:DWORD dst_unused:UNUSED_PAD src0_sel:WORD_1 src1_sel:DWORD
	v_fma_f16 v48, v58, 0xb5ac, -v48
	v_fmac_f16_e32 v50, 0x3b7b, v59
	v_mul_f16_sdwa v64, v58, v22 dst_sel:DWORD dst_unused:UNUSED_PAD src0_sel:WORD_1 src1_sel:DWORD
	v_add_f16_e32 v37, v68, v37
	v_add_f16_e32 v68, v98, v89
	;; [unrolled: 1-line block ×7, first 2 shown]
	v_fmamk_f16 v67, v58, 0x3b15, v63
	v_add_f16_e32 v48, v48, v61
	v_add_f16_e32 v50, v50, v65
	v_fmamk_f16 v61, v59, 0xb770, v64
	v_mul_f16_sdwa v65, v59, v25 dst_sel:DWORD dst_unused:UNUSED_PAD src0_sel:WORD_1 src1_sel:DWORD
	v_fma_f16 v63, v58, 0x3b15, -v63
	v_fmac_f16_e32 v64, 0x3770, v59
	v_mul_f16_sdwa v80, v59, v28 dst_sel:DWORD dst_unused:UNUSED_PAD src0_sel:WORD_1 src1_sel:DWORD
	v_add_f16_e32 v71, v96, v88
	v_add_f16_e32 v38, v38, v68
	;; [unrolled: 1-line block ×3, first 2 shown]
	v_fmamk_f16 v68, v58, 0x388b, v65
	v_mul_f16_sdwa v69, v58, v24 dst_sel:DWORD dst_unused:UNUSED_PAD src0_sel:WORD_1 src1_sel:DWORD
	v_add_f16_e32 v62, v63, v62
	v_add_f16_e32 v63, v64, v66
	v_pk_mul_f16 v64, 0xb9fd, v58 op_sel_hi:[0,1]
	v_fmamk_f16 v79, v58, 0x2fb7, v80
	v_fma_f16 v80, v58, 0x2fb7, -v80
	v_add_f16_e32 v66, v68, v71
	v_fmamk_f16 v68, v59, 0x3a95, v69
	v_fma_f16 v58, v58, 0x388b, -v65
	v_fmac_f16_e32 v69, 0xba95, v59
	v_pk_fma_f16 v65, 0xb94e, v59, v64 op_sel:[0,0,1] op_sel_hi:[0,1,0]
	v_pk_fma_f16 v59, 0xb94e, v59, v64 op_sel:[0,0,1] op_sel_hi:[0,1,0] neg_lo:[0,1,0] neg_hi:[0,1,0]
	v_mul_f16_sdwa v64, v57, v8 dst_sel:DWORD dst_unused:UNUSED_PAD src0_sel:WORD_1 src1_sel:DWORD
	v_mul_f16_sdwa v36, v56, v36 dst_sel:DWORD dst_unused:UNUSED_PAD src0_sel:WORD_1 src1_sel:DWORD
	v_add_f16_e32 v39, v79, v39
	v_add_f16_e32 v51, v58, v51
	v_pk_add_f16 v18, v59, v18
	v_fmamk_f16 v58, v56, 0xb5ac, v64
	v_mul_f16_sdwa v45, v57, v45 dst_sel:DWORD dst_unused:UNUSED_PAD src0_sel:WORD_1 src1_sel:DWORD
	v_fmamk_f16 v59, v57, 0x3b7b, v36
	v_add_f16_e32 v37, v80, v37
	v_fma_f16 v64, v56, 0xb5ac, -v64
	v_add_f16_e32 v39, v58, v39
	v_fmac_f16_e32 v36, 0xbb7b, v57
	v_fmamk_f16 v58, v56, 0xb9fd, v45
	v_add_f16_e32 v19, v59, v19
	v_mul_f16_sdwa v59, v56, v27 dst_sel:DWORD dst_unused:UNUSED_PAD src0_sel:WORD_1 src1_sel:DWORD
	v_add_f16_e32 v20, v100, v91
	v_pk_add_f16 v21, v101, v92
	v_add_f16_e32 v37, v64, v37
	v_add_f16_e32 v36, v36, v40
	;; [unrolled: 1-line block ×3, first 2 shown]
	v_mul_f16_sdwa v40, v57, v53 dst_sel:DWORD dst_unused:UNUSED_PAD src0_sel:WORD_1 src1_sel:DWORD
	v_mul_f16_sdwa v58, v56, v22 dst_sel:DWORD dst_unused:UNUSED_PAD src0_sel:WORD_1 src1_sel:DWORD
	v_fmamk_f16 v64, v57, 0xb94e, v59
	v_fma_f16 v45, v56, 0xb9fd, -v45
	v_fmac_f16_e32 v59, 0x394e, v57
	v_add_f16_e32 v20, v68, v20
	v_pk_add_f16 v21, v65, v21
	v_fmamk_f16 v65, v56, 0x3b15, v40
	v_fmamk_f16 v68, v57, 0xb770, v58
	v_add_f16_e32 v45, v45, v49
	v_add_f16_e32 v49, v59, v60
	v_fma_f16 v40, v56, 0x3b15, -v40
	v_mul_f16_sdwa v28, v57, v28 dst_sel:DWORD dst_unused:UNUSED_PAD src0_sel:WORD_1 src1_sel:DWORD
	v_fmac_f16_e32 v58, 0x3770, v57
	v_mul_f16_sdwa v59, v56, v26 dst_sel:DWORD dst_unused:UNUSED_PAD src0_sel:WORD_1 src1_sel:DWORD
	v_add_f16_e32 v70, v99, v90
	v_mov_b32_e32 v60, 0x33a8
	v_add_f16_e32 v40, v40, v48
	v_fmamk_f16 v48, v56, 0x2fb7, v28
	v_add_f16_e32 v50, v58, v50
	v_fmamk_f16 v58, v57, 0x3bf1, v59
	v_fma_f16 v28, v56, 0x2fb7, -v28
	v_fmac_f16_e32 v59, 0xbbf1, v57
	v_add_f16_e32 v61, v61, v70
	v_add_f16_e32 v41, v64, v41
	v_mul_f16_sdwa v64, v57, v60 dst_sel:DWORD dst_unused:UNUSED_PAD src0_sel:WORD_1 src1_sel:DWORD
	v_add_f16_e32 v28, v28, v62
	v_mul_f16_sdwa v62, v56, v47 dst_sel:DWORD dst_unused:UNUSED_PAD src0_sel:WORD_1 src1_sel:DWORD
	v_add_f16_e32 v59, v59, v63
	v_pk_mul_f16 v63, 0x388b, v56 op_sel_hi:[0,1]
	v_add_f16_e32 v35, v65, v35
	v_add_f16_e32 v58, v58, v61
	v_fmamk_f16 v61, v56, 0xbbc4, v64
	v_fma_f16 v56, v56, 0xbbc4, -v64
	v_fmamk_f16 v64, v57, 0xb3a8, v62
	v_fmac_f16_e32 v62, 0x33a8, v57
	v_pk_fma_f16 v65, 0x3a95, v57, v63 op_sel:[0,0,1] op_sel_hi:[0,1,0]
	v_pk_fma_f16 v57, 0x3a95, v57, v63 op_sel:[0,0,1] op_sel_hi:[0,1,0] neg_lo:[0,1,0] neg_hi:[0,1,0]
	v_mul_f16_sdwa v63, v55, v23 dst_sel:DWORD dst_unused:UNUSED_PAD src0_sel:WORD_1 src1_sel:DWORD
	v_mul_f16_sdwa v27, v54, v27 dst_sel:DWORD dst_unused:UNUSED_PAD src0_sel:WORD_1 src1_sel:DWORD
	v_add_f16_e32 v51, v56, v51
	v_mul_f16_sdwa v46, v55, v46 dst_sel:DWORD dst_unused:UNUSED_PAD src0_sel:WORD_1 src1_sel:DWORD
	v_pk_add_f16 v18, v57, v18
	v_fmamk_f16 v56, v54, 0xb9fd, v63
	v_fmamk_f16 v57, v55, 0x394e, v27
	v_fmac_f16_e32 v27, 0xb94e, v55
	v_mul_f16_sdwa v26, v54, v26 dst_sel:DWORD dst_unused:UNUSED_PAD src0_sel:WORD_1 src1_sel:DWORD
	v_mul_f16_sdwa v25, v55, v25 dst_sel:DWORD dst_unused:UNUSED_PAD src0_sel:WORD_1 src1_sel:DWORD
	v_add_f16_e32 v39, v56, v39
	v_fma_f16 v56, v54, 0xb9fd, -v63
	v_add_f16_e32 v19, v57, v19
	v_fmamk_f16 v57, v54, 0x2fb7, v46
	v_add_f16_e32 v27, v27, v36
	v_fmamk_f16 v36, v55, 0xbbf1, v26
	v_fma_f16 v46, v54, 0x2fb7, -v46
	v_mul_f16_sdwa v24, v54, v24 dst_sel:DWORD dst_unused:UNUSED_PAD src0_sel:WORD_1 src1_sel:DWORD
	v_add_f16_e32 v38, v68, v38
	v_add_f16_e32 v37, v56, v37
	v_fmac_f16_e32 v26, 0x3bf1, v55
	v_fmamk_f16 v56, v54, 0x388b, v25
	v_add_f16_e32 v36, v36, v41
	v_add_f16_e32 v41, v46, v45
	v_fmamk_f16 v45, v55, 0x3a95, v24
	v_mul_f16_sdwa v46, v55, v60 dst_sel:DWORD dst_unused:UNUSED_PAD src0_sel:WORD_1 src1_sel:DWORD
	v_mul_f16_sdwa v47, v54, v47 dst_sel:DWORD dst_unused:UNUSED_PAD src0_sel:WORD_1 src1_sel:DWORD
	v_fma_f16 v25, v54, 0x388b, -v25
	v_fmac_f16_e32 v24, 0xba95, v55
	v_add_f16_e32 v48, v48, v67
	v_add_f16_e32 v26, v26, v49
	;; [unrolled: 1-line block ×4, first 2 shown]
	v_fmamk_f16 v45, v54, 0xbbc4, v46
	v_fmamk_f16 v49, v55, 0xb3a8, v47
	v_add_f16_e32 v25, v25, v40
	v_add_f16_e32 v24, v24, v50
	v_mul_f16_sdwa v40, v55, v53 dst_sel:DWORD dst_unused:UNUSED_PAD src0_sel:WORD_1 src1_sel:DWORD
	v_alignbit_b32 v50, v43, v42, 16
	v_alignbit_b32 v56, v42, v43, 16
	v_add_f16_e32 v45, v45, v48
	v_add_f16_e32 v48, v49, v58
	v_fma_f16 v46, v54, 0xbbc4, -v46
	v_fmac_f16_e32 v47, 0x33a8, v55
	v_fmamk_f16 v49, v54, 0x3b15, v40
	v_mul_f16_sdwa v22, v54, v22 dst_sel:DWORD dst_unused:UNUSED_PAD src0_sel:WORD_1 src1_sel:DWORD
	v_pk_add_f16 v50, v50, v56
	v_pk_add_f16 v42, v42, v43 neg_lo:[0,1] neg_hi:[0,1]
	v_fma_f16 v40, v54, 0x3b15, -v40
	v_pk_mul_f16 v43, 0xb5ac, v54 op_sel_hi:[0,1]
	v_add_f16_e32 v52, v69, v52
	v_add_f16_e32 v20, v64, v20
	v_pk_add_f16 v21, v65, v21
	v_add_f16_e32 v28, v46, v28
	v_add_f16_e32 v46, v47, v59
	v_fmamk_f16 v47, v55, 0xb770, v22
	v_add_f16_e32 v40, v40, v51
	v_fmac_f16_e32 v22, 0x3770, v55
	v_pk_fma_f16 v51, 0xbb7b, v55, v43 op_sel:[0,0,1] op_sel_hi:[0,1,0]
	v_pk_fma_f16 v43, 0xbb7b, v55, v43 op_sel:[0,0,1] op_sel_hi:[0,1,0] neg_lo:[0,1,0] neg_hi:[0,1,0]
	v_mul_f16_e32 v55, 0xbbc4, v50
	v_add_f16_e32 v52, v62, v52
	v_add_f16_e32 v20, v47, v20
	v_lshrrev_b32_e32 v47, 16, v50
	v_pk_add_f16 v21, v51, v21
	v_pk_add_f16 v18, v43, v18
	v_fmamk_f16 v43, v42, 0x33a8, v55
	v_mul_f16_sdwa v51, v42, v53 dst_sel:DWORD dst_unused:UNUSED_PAD src0_sel:WORD_1 src1_sel:DWORD
	v_add_f16_e32 v7, v57, v7
	v_mul_f16_sdwa v44, v42, v44 dst_sel:DWORD dst_unused:UNUSED_PAD src0_sel:WORD_1 src1_sel:DWORD
	v_add_f16_e32 v22, v22, v52
	v_mul_f16_e32 v52, 0x3b15, v50
	v_add_f16_e32 v19, v43, v19
	v_fmamk_f16 v43, v47, 0x3b15, v51
	v_fmamk_f16 v54, v47, 0xbbc4, v44
	v_fma_f16 v44, v47, 0xbbc4, -v44
	v_fmamk_f16 v53, v42, 0xb770, v52
	v_mul_f16_sdwa v23, v42, v23 dst_sel:DWORD dst_unused:UNUSED_PAD src0_sel:WORD_1 src1_sel:DWORD
	v_add_f16_e32 v7, v43, v7
	v_fma_f16 v43, v47, 0x3b15, -v51
	v_mov_b32_e32 v51, 0x3a95
	v_add_f16_e32 v37, v44, v37
	v_add_f16_e32 v36, v53, v36
	v_fmac_f16_e32 v52, 0x3770, v42
	v_fmamk_f16 v44, v47, 0xb9fd, v23
	v_mul_f16_e32 v53, 0xb9fd, v50
	v_add_f16_e32 v41, v43, v41
	v_mul_f16_sdwa v43, v42, v51 dst_sel:DWORD dst_unused:UNUSED_PAD src0_sel:WORD_1 src1_sel:DWORD
	v_add_f16_e32 v26, v52, v26
	v_add_f16_e32 v35, v44, v35
	v_fmamk_f16 v44, v42, 0x394e, v53
	v_fma_f16 v23, v47, 0xb9fd, -v23
	v_mul_f16_e32 v51, 0x388b, v50
	v_fmamk_f16 v52, v47, 0x388b, v43
	v_fma_f16 v43, v47, 0x388b, -v43
	v_mul_f16_sdwa v8, v42, v8 dst_sel:DWORD dst_unused:UNUSED_PAD src0_sel:WORD_1 src1_sel:DWORD
	v_add_f16_e32 v61, v61, v66
	v_add_f16_e32 v38, v44, v38
	;; [unrolled: 1-line block ×3, first 2 shown]
	v_fmamk_f16 v25, v42, 0xba95, v51
	v_add_f16_e32 v44, v52, v45
	v_mul_f16_e32 v45, 0xb5ac, v50
	v_add_f16_e32 v28, v43, v28
	v_fmamk_f16 v43, v47, 0xb5ac, v8
	v_fma_f16 v8, v47, 0xb5ac, -v8
	v_pk_mul_f16 v47, 0x3bf1, v42 op_sel_hi:[0,1]
	v_add_f16_e32 v49, v49, v61
	v_add_f16_e32 v39, v54, v39
	v_add_f16_e32 v25, v25, v48
	v_fmamk_f16 v48, v42, 0x3b7b, v45
	v_fmac_f16_e32 v55, 0xb3a8, v42
	v_fmac_f16_e32 v53, 0xb94e, v42
	;; [unrolled: 1-line block ×3, first 2 shown]
	v_add_f16_e32 v8, v8, v40
	v_fmac_f16_e32 v45, 0xbb7b, v42
	v_pk_fma_f16 v40, 0x2fb7, v50, v47 op_sel_hi:[0,1,1]
	v_pk_fma_f16 v42, 0x2fb7, v50, v47 op_sel_hi:[0,1,1] neg_lo:[0,0,1] neg_hi:[0,0,1]
	v_add_f16_e32 v43, v43, v49
	v_add_f16_e32 v20, v48, v20
	v_pack_b32_f16 v7, v7, v36
	v_pack_b32_f16 v19, v39, v19
	;; [unrolled: 1-line block ×4, first 2 shown]
	v_pk_add_f16 v21, v40, v21
	v_pk_add_f16 v18, v42, v18
	v_add_f16_e32 v46, v51, v46
	v_add_f16_e32 v22, v45, v22
	;; [unrolled: 1-line block ×4, first 2 shown]
	ds_write2_b32 v30, v19, v7 offset0:1 offset1:2
	ds_write2_b32 v30, v35, v25 offset0:3 offset1:4
	v_pack_b32_f16 v7, v43, v20
	v_alignbit_b32 v19, v21, v18, 16
	v_alignbit_b32 v18, v18, v21, 16
	v_pack_b32_f16 v20, v28, v46
	v_pack_b32_f16 v8, v8, v22
	;; [unrolled: 1-line block ×5, first 2 shown]
	ds_write2_b32 v30, v6, v7 offset1:5
	ds_write2_b32 v30, v18, v19 offset0:6 offset1:7
	ds_write2_b32 v30, v8, v20 offset0:8 offset1:9
	;; [unrolled: 1-line block ×3, first 2 shown]
	ds_write_b32 v30, v23 offset:48
	s_waitcnt lgkmcnt(0)
	s_barrier
	buffer_gl0_inv
	ds_read2_b32 v[6:7], v30 offset1:1
	ds_read2_b32 v[22:23], v30 offset0:2 offset1:3
	ds_read2_b32 v[20:21], v30 offset0:4 offset1:5
	;; [unrolled: 1-line block ×3, first 2 shown]
	s_waitcnt lgkmcnt(3)
	v_lshrrev_b32_e32 v8, 16, v6
	v_mul_f16_sdwa v24, v13, v8 dst_sel:DWORD dst_unused:UNUSED_PAD src0_sel:WORD_1 src1_sel:DWORD
	v_fmac_f16_e32 v24, v13, v6
	v_mul_f16_sdwa v6, v13, v6 dst_sel:DWORD dst_unused:UNUSED_PAD src0_sel:WORD_1 src1_sel:DWORD
	v_cvt_f32_f16_e32 v24, v24
	v_fma_f16 v6, v13, v8, -v6
	v_cvt_f64_f32_e32 v[24:25], v24
	v_cvt_f32_f16_e32 v6, v6
	v_cvt_f64_f32_e32 v[26:27], v6
	v_mul_f64 v[24:25], v[24:25], s[2:3]
	v_mul_f64 v[26:27], v[26:27], s[2:3]
	v_and_or_b32 v6, 0x1ff, v25, v24
	v_lshrrev_b32_e32 v8, 8, v25
	v_bfe_u32 v13, v25, 20, 11
	v_lshrrev_b32_e32 v24, 16, v7
	v_cmp_ne_u32_e32 vcc_lo, 0, v6
	v_and_or_b32 v26, 0x1ff, v27, v26
	v_lshrrev_b32_e32 v38, 8, v27
	v_mul_f16_e32 v35, v34, v24
	v_bfe_u32 v39, v27, 20, 11
	v_cndmask_b32_e64 v6, 0, 1, vcc_lo
	v_cmp_ne_u32_e32 vcc_lo, 0, v26
	v_lshrrev_b32_e32 v27, 16, v27
	v_fmac_f16_e32 v35, v14, v7
	v_and_or_b32 v8, 0xffe, v8, v6
	v_sub_nc_u32_e32 v6, 0x3f1, v13
	v_cndmask_b32_e64 v26, 0, 1, vcc_lo
	v_cvt_f32_f16_e32 v35, v35
	v_or_b32_e32 v28, 0x1000, v8
	v_med3_i32 v6, v6, 0, 13
	v_and_or_b32 v26, 0xffe, v38, v26
	v_cvt_f64_f32_e32 v[35:36], v35
	v_lshrrev_b32_e32 v37, v6, v28
	v_or_b32_e32 v38, 0x1000, v26
	v_lshlrev_b32_e32 v6, v6, v37
	v_cmp_ne_u32_e32 vcc_lo, v6, v28
	v_add_nc_u32_e32 v28, 0xfffffc10, v13
	v_sub_nc_u32_e32 v13, 0x3f1, v39
	v_cndmask_b32_e64 v6, 0, 1, vcc_lo
	v_cmp_gt_i32_e32 vcc_lo, 1, v28
	v_med3_i32 v13, v13, 0, 13
	v_or_b32_e32 v6, v37, v6
	v_lshl_or_b32 v37, v28, 12, v8
	v_lshrrev_b32_e32 v40, v13, v38
	v_cndmask_b32_e32 v37, v37, v6, vcc_lo
	v_mul_f16_e32 v6, v34, v7
	v_lshlrev_b32_e32 v41, v13, v40
	v_and_b32_e32 v34, 7, v37
	v_fma_f16 v24, v14, v24, -v6
	v_mul_f64 v[13:14], v[35:36], s[2:3]
	v_lshrrev_b32_e32 v36, 2, v37
	v_cmp_ne_u32_e64 s1, v41, v38
	v_cmp_lt_i32_e32 vcc_lo, 5, v34
	v_cvt_f32_f16_e32 v24, v24
	v_cmp_eq_u32_e64 s0, 3, v34
	v_add_nc_u32_e32 v38, 0xfffffc10, v39
	v_cndmask_b32_e64 v37, 0, 1, s1
	v_mad_u64_u32 v[6:7], null, s10, v17, 0
	v_cvt_f64_f32_e32 v[34:35], v24
	s_or_b32 vcc_lo, s0, vcc_lo
	v_lshrrev_b32_e32 v41, 16, v25
	v_add_co_ci_u32_e32 v24, vcc_lo, 0, v36, vcc_lo
	v_cmp_ne_u32_e32 vcc_lo, 0, v8
	v_or_b32_e32 v36, v40, v37
	v_lshl_or_b32 v37, v38, 12, v26
	v_cndmask_b32_e64 v8, 0, 1, vcc_lo
	v_cmp_gt_i32_e32 vcc_lo, 1, v38
	v_and_or_b32 v13, 0x1ff, v14, v13
	v_cndmask_b32_e32 v36, v37, v36, vcc_lo
	v_cmp_gt_i32_e32 vcc_lo, 31, v28
	v_lshl_or_b32 v37, v8, 9, 0x7c00
	v_mad_u64_u32 v[7:8], null, s11, v17, v[7:8]
	v_and_b32_e32 v39, 7, v36
	v_cndmask_b32_e32 v24, 0x7c00, v24, vcc_lo
	v_cmp_eq_u32_e32 vcc_lo, 0x40f, v28
	v_mul_f64 v[34:35], v[34:35], s[2:3]
	v_cmp_ne_u32_e64 s1, 0, v13
	s_waitcnt lgkmcnt(2)
	v_lshrrev_b32_e32 v28, 16, v22
	v_cmp_eq_u32_e64 s0, 3, v39
	v_cndmask_b32_e32 v8, v24, v37, vcc_lo
	v_cmp_lt_i32_e32 vcc_lo, 5, v39
	v_lshrrev_b32_e32 v17, 2, v36
	v_cndmask_b32_e64 v13, 0, 1, s1
	v_lshrrev_b32_e32 v24, 8, v14
	v_bfe_u32 v36, v14, 20, 11
	v_mul_f16_sdwa v37, v15, v28 dst_sel:DWORD dst_unused:UNUSED_PAD src0_sel:WORD_1 src1_sel:DWORD
	s_or_b32 vcc_lo, s0, vcc_lo
	v_and_or_b32 v8, 0x8000, v41, v8
	v_add_co_ci_u32_e32 v17, vcc_lo, 0, v17, vcc_lo
	v_cmp_ne_u32_e32 vcc_lo, 0, v26
	v_and_or_b32 v13, 0xffe, v24, v13
	v_sub_nc_u32_e32 v24, 0x3f1, v36
	v_fmac_f16_e32 v37, v15, v22
	v_mul_f16_sdwa v22, v15, v22 dst_sel:DWORD dst_unused:UNUSED_PAD src0_sel:WORD_1 src1_sel:DWORD
	v_cndmask_b32_e64 v26, 0, 1, vcc_lo
	v_cmp_gt_i32_e32 vcc_lo, 31, v38
	v_med3_i32 v40, v24, 0, 13
	v_cvt_f32_f16_e32 v24, v37
	v_or_b32_e32 v39, 0x1000, v13
	v_lshl_or_b32 v26, v26, 9, 0x7c00
	v_cndmask_b32_e32 v17, 0x7c00, v17, vcc_lo
	v_and_or_b32 v34, 0x1ff, v35, v34
	v_cmp_eq_u32_e32 vcc_lo, 0x40f, v38
	v_cvt_f64_f32_e32 v[24:25], v24
	v_lshrrev_b32_e32 v37, v40, v39
	v_lshrrev_b32_e32 v38, 8, v35
	v_fma_f16 v15, v15, v28, -v22
	v_cndmask_b32_e32 v17, v17, v26, vcc_lo
	v_cmp_ne_u32_e32 vcc_lo, 0, v34
	v_lshlrev_b32_e32 v26, v40, v37
	v_bfe_u32 v40, v35, 20, 11
	v_and_b32_e32 v8, 0xffff, v8
	v_and_or_b32 v17, 0x8000, v27, v17
	v_cndmask_b32_e64 v34, 0, 1, vcc_lo
	v_cmp_ne_u32_e32 vcc_lo, v26, v39
	v_sub_nc_u32_e32 v27, 0x3f1, v40
	v_lshlrev_b64 v[6:7], 2, v[6:7]
	v_lshl_or_b32 v8, v17, 16, v8
	v_and_or_b32 v34, 0xffe, v38, v34
	v_cndmask_b32_e64 v26, 0, 1, vcc_lo
	v_add_nc_u32_e32 v38, 0xfffffc10, v36
	v_med3_i32 v27, v27, 0, 13
	v_cvt_f32_f16_e32 v15, v15
	v_or_b32_e32 v36, 0x1000, v34
	v_or_b32_e32 v26, v37, v26
	v_lshl_or_b32 v37, v38, 12, v13
	v_cmp_gt_i32_e32 vcc_lo, 1, v38
	v_mul_f64 v[24:25], v[24:25], s[2:3]
	v_lshrrev_b32_e32 v22, v27, v36
	v_lshrrev_b32_e32 v39, 16, v23
	;; [unrolled: 1-line block ×3, first 2 shown]
	v_cndmask_b32_e32 v28, v37, v26, vcc_lo
	v_add_co_u32 v6, vcc_lo, s4, v6
	v_lshlrev_b32_e32 v17, v27, v22
	v_add_co_ci_u32_e32 v7, vcc_lo, s5, v7, vcc_lo
	v_and_b32_e32 v37, 7, v28
	v_cvt_f64_f32_e32 v[26:27], v15
	v_cmp_ne_u32_e64 s1, v17, v36
	global_store_dword v[6:7], v8, off
	v_lshrrev_b32_e32 v8, 2, v28
	v_cmp_lt_i32_e32 vcc_lo, 5, v37
	v_cmp_eq_u32_e64 s0, 3, v37
	v_cndmask_b32_e64 v15, 0, 1, s1
	v_add_nc_u32_e32 v17, 0xfffffc10, v40
	v_mul_f16_e32 v37, v33, v39
	s_lshl_b64 s[4:5], s[8:9], 2
	s_or_b32 vcc_lo, s0, vcc_lo
	v_and_or_b32 v24, 0x1ff, v25, v24
	v_add_co_ci_u32_e32 v8, vcc_lo, 0, v8, vcc_lo
	v_or_b32_e32 v15, v22, v15
	v_lshl_or_b32 v22, v17, 12, v34
	v_cmp_gt_i32_e32 vcc_lo, 1, v17
	v_bfe_u32 v28, v25, 20, 11
	v_fmac_f16_e32 v37, v16, v23
	v_mul_f16_e32 v23, v33, v23
	v_cndmask_b32_e32 v15, v22, v15, vcc_lo
	v_cmp_ne_u32_e32 vcc_lo, 0, v24
	v_mul_f64 v[26:27], v[26:27], s[2:3]
	v_lshrrev_b32_e32 v24, 8, v25
	v_fma_f16 v16, v16, v39, -v23
	v_and_b32_e32 v36, 7, v15
	v_cndmask_b32_e64 v22, 0, 1, vcc_lo
	v_cmp_ne_u32_e32 vcc_lo, 0, v13
	v_lshrrev_b32_e32 v15, 2, v15
	v_lshrrev_b32_e32 v23, 16, v35
	v_cmp_eq_u32_e64 s0, 3, v36
	v_and_or_b32 v22, 0xffe, v24, v22
	v_cndmask_b32_e64 v13, 0, 1, vcc_lo
	v_cmp_gt_i32_e32 vcc_lo, 31, v38
	v_sub_nc_u32_e32 v24, 0x3f1, v28
	v_add_nc_u32_e32 v28, 0xfffffc10, v28
	v_or_b32_e32 v40, 0x1000, v22
	v_lshl_or_b32 v13, v13, 9, 0x7c00
	v_cndmask_b32_e32 v8, 0x7c00, v8, vcc_lo
	v_cmp_lt_i32_e32 vcc_lo, 5, v36
	v_med3_i32 v24, v24, 0, 13
	v_cvt_f32_f16_e32 v36, v37
	v_cvt_f32_f16_e32 v16, v16
	s_or_b32 vcc_lo, s0, vcc_lo
	v_lshrrev_b32_e32 v41, v24, v40
	v_add_co_ci_u32_e32 v15, vcc_lo, 0, v15, vcc_lo
	v_cmp_eq_u32_e32 vcc_lo, 0x40f, v38
	v_and_or_b32 v26, 0x1ff, v27, v26
	v_cvt_f64_f32_e32 v[36:37], v36
	v_lshlrev_b32_e32 v24, v24, v41
	v_bfe_u32 v38, v27, 20, 11
	v_cndmask_b32_e32 v8, v8, v13, vcc_lo
	v_cmp_ne_u32_e32 vcc_lo, 0, v34
	v_lshrrev_b32_e32 v34, 8, v27
	v_lshrrev_b32_e32 v27, 16, v27
	v_and_or_b32 v8, 0x8000, v14, v8
	v_cndmask_b32_e64 v13, 0, 1, vcc_lo
	v_cmp_gt_i32_e32 vcc_lo, 31, v17
	v_and_b32_e32 v8, 0xffff, v8
	v_lshl_or_b32 v13, v13, 9, 0x7c00
	v_cndmask_b32_e32 v15, 0x7c00, v15, vcc_lo
	v_cmp_ne_u32_e32 vcc_lo, 0, v26
	v_cndmask_b32_e64 v26, 0, 1, vcc_lo
	v_cmp_ne_u32_e32 vcc_lo, v24, v40
	v_lshl_or_b32 v40, v28, 12, v22
	v_mul_f64 v[36:37], v[36:37], s[2:3]
	v_and_or_b32 v26, 0xffe, v34, v26
	v_cndmask_b32_e64 v24, 0, 1, vcc_lo
	v_sub_nc_u32_e32 v34, 0x3f1, v38
	v_cmp_eq_u32_e32 vcc_lo, 0x40f, v17
	v_or_b32_e32 v24, v41, v24
	v_or_b32_e32 v41, 0x1000, v26
	v_med3_i32 v34, v34, 0, 13
	v_cndmask_b32_e32 v13, v15, v13, vcc_lo
	v_cmp_gt_i32_e32 vcc_lo, 1, v28
	v_lshrrev_b32_e32 v17, v34, v41
	v_and_or_b32 v23, 0x8000, v23, v13
	v_cndmask_b32_e32 v15, v40, v24, vcc_lo
	v_lshlrev_b32_e32 v24, v34, v17
	v_lshl_or_b32 v33, v23, 16, v8
	v_and_b32_e32 v14, 7, v15
	v_lshrrev_b32_e32 v8, 2, v15
	v_and_or_b32 v15, 0x1ff, v37, v36
	v_cmp_ne_u32_e64 s1, v24, v41
	v_add_nc_u32_e32 v24, 0xfffffc10, v38
	v_cmp_lt_i32_e32 vcc_lo, 5, v14
	v_cmp_eq_u32_e64 s0, 3, v14
	v_cvt_f64_f32_e32 v[13:14], v16
	v_cndmask_b32_e64 v16, 0, 1, s1
	v_bfe_u32 v23, v37, 20, 11
	v_cmp_gt_i32_e64 s1, 31, v28
	s_or_b32 vcc_lo, s0, vcc_lo
	v_add_co_ci_u32_e32 v8, vcc_lo, 0, v8, vcc_lo
	v_or_b32_e32 v16, v17, v16
	v_lshl_or_b32 v17, v24, 12, v26
	v_cmp_gt_i32_e32 vcc_lo, 1, v24
	v_cndmask_b32_e64 v8, 0x7c00, v8, s1
	v_cndmask_b32_e32 v16, v17, v16, vcc_lo
	v_cmp_ne_u32_e32 vcc_lo, 0, v15
	v_lshrrev_b32_e32 v17, 8, v37
	v_and_b32_e32 v34, 7, v16
	v_cndmask_b32_e64 v15, 0, 1, vcc_lo
	v_cmp_ne_u32_e32 vcc_lo, 0, v22
	v_lshrrev_b32_e32 v16, 2, v16
	v_mul_f64 v[13:14], v[13:14], s[2:3]
	v_cmp_eq_u32_e64 s0, 3, v34
	v_and_or_b32 v17, 0xffe, v17, v15
	v_cndmask_b32_e64 v22, 0, 1, vcc_lo
	v_cmp_lt_i32_e32 vcc_lo, 5, v34
	v_sub_nc_u32_e32 v15, 0x3f1, v23
	v_or_b32_e32 v34, 0x1000, v17
	v_lshl_or_b32 v22, v22, 9, 0x7c00
	s_or_b32 vcc_lo, s0, vcc_lo
	v_med3_i32 v15, v15, 0, 13
	v_add_co_ci_u32_e32 v16, vcc_lo, 0, v16, vcc_lo
	v_cmp_ne_u32_e32 vcc_lo, 0, v26
	v_lshrrev_b32_e32 v35, v15, v34
	v_cndmask_b32_e64 v26, 0, 1, vcc_lo
	v_cmp_eq_u32_e32 vcc_lo, 0x40f, v28
	v_lshlrev_b32_e32 v15, v15, v35
	v_and_or_b32 v13, 0x1ff, v14, v13
	v_lshl_or_b32 v26, v26, 9, 0x7c00
	v_cndmask_b32_e32 v8, v8, v22, vcc_lo
	v_cmp_gt_i32_e32 vcc_lo, 31, v24
	v_lshrrev_b32_e32 v22, 16, v25
	s_waitcnt lgkmcnt(1)
	v_lshrrev_b32_e32 v25, 16, v20
	v_cndmask_b32_e32 v16, 0x7c00, v16, vcc_lo
	v_cmp_ne_u32_e32 vcc_lo, v15, v34
	v_mul_f16_sdwa v28, v9, v25 dst_sel:DWORD dst_unused:UNUSED_PAD src0_sel:WORD_1 src1_sel:DWORD
	v_bfe_u32 v34, v14, 20, 11
	v_and_or_b32 v8, 0x8000, v22, v8
	v_cndmask_b32_e64 v15, 0, 1, vcc_lo
	v_cmp_eq_u32_e32 vcc_lo, 0x40f, v24
	v_fmac_f16_e32 v28, v9, v20
	v_sub_nc_u32_e32 v36, 0x3f1, v34
	v_mul_f16_sdwa v20, v9, v20 dst_sel:DWORD dst_unused:UNUSED_PAD src0_sel:WORD_1 src1_sel:DWORD
	v_cndmask_b32_e32 v24, v16, v26, vcc_lo
	v_cmp_ne_u32_e32 vcc_lo, 0, v13
	v_add_nc_u32_e32 v26, 0xfffffc10, v23
	v_lshrrev_b32_e32 v16, 8, v14
	v_cvt_f32_f16_e32 v23, v28
	v_or_b32_e32 v28, v35, v15
	v_cndmask_b32_e64 v13, 0, 1, vcc_lo
	v_lshl_or_b32 v35, v26, 12, v17
	v_cmp_gt_i32_e32 vcc_lo, 1, v26
	v_fma_f16 v20, v9, v25, -v20
	v_and_or_b32 v24, 0x8000, v27, v24
	v_and_or_b32 v13, 0xffe, v16, v13
	v_cvt_f64_f32_e32 v[15:16], v23
	v_cndmask_b32_e32 v23, v35, v28, vcc_lo
	v_med3_i32 v35, v36, 0, 13
	v_cvt_f32_f16_e32 v20, v20
	v_or_b32_e32 v28, 0x1000, v13
	v_and_b32_e32 v27, 0xffff, v8
	v_and_b32_e32 v22, 7, v23
	v_lshrrev_b32_e32 v25, 2, v23
	v_add_co_u32 v8, s1, v6, s4
	v_lshrrev_b32_e32 v36, v35, v28
	v_cmp_lt_i32_e32 vcc_lo, 5, v22
	v_cmp_eq_u32_e64 s0, 3, v22
	v_cvt_f64_f32_e32 v[22:23], v20
	v_add_co_ci_u32_e64 v9, s1, s5, v7, s1
	v_lshlrev_b32_e32 v35, v35, v36
	s_or_b32 vcc_lo, s0, vcc_lo
	v_add_nc_u32_e32 v20, 0xfffffc10, v34
	v_add_co_ci_u32_e32 v25, vcc_lo, 0, v25, vcc_lo
	v_cmp_ne_u32_e64 s1, v35, v28
	v_mul_f64 v[15:16], v[15:16], s[2:3]
	v_cmp_ne_u32_e32 vcc_lo, 0, v17
	v_lshl_or_b32 v34, v20, 12, v13
	v_lshl_or_b32 v27, v24, 16, v27
	v_cndmask_b32_e64 v28, 0, 1, s1
	s_lshl_b64 s[0:1], s[8:9], 3
	v_cndmask_b32_e64 v17, 0, 1, vcc_lo
	v_cmp_gt_i32_e32 vcc_lo, 31, v26
	s_lshl_b64 s[4:5], s[8:9], 4
	v_or_b32_e32 v28, v36, v28
	v_lshl_or_b32 v17, v17, 9, 0x7c00
	v_cndmask_b32_e32 v35, 0x7c00, v25, vcc_lo
	v_cmp_gt_i32_e32 vcc_lo, 1, v20
	v_mul_f64 v[22:23], v[22:23], s[2:3]
	v_cndmask_b32_e32 v28, v34, v28, vcc_lo
	v_add_co_u32 v24, vcc_lo, v6, s0
	v_add_co_ci_u32_e32 v25, vcc_lo, s1, v7, vcc_lo
	v_and_or_b32 v15, 0x1ff, v16, v15
	v_and_b32_e32 v34, 7, v28
	v_cmp_eq_u32_e32 vcc_lo, 0x40f, v26
	global_store_dword v[8:9], v33, off
	global_store_dword v[24:25], v27, off
	v_lshrrev_b32_e32 v27, 16, v21
	v_cmp_ne_u32_e64 s0, 0, v15
	v_lshrrev_b32_e32 v9, 8, v16
	v_cndmask_b32_e32 v17, v35, v17, vcc_lo
	v_cmp_lt_i32_e32 vcc_lo, 5, v34
	v_lshrrev_b32_e32 v25, 2, v28
	v_cndmask_b32_e64 v8, 0, 1, s0
	v_cmp_eq_u32_e64 s0, 3, v34
	v_bfe_u32 v15, v16, 20, 11
	v_mul_f16_e32 v24, v32, v27
	v_and_or_b32 v22, 0x1ff, v23, v22
	v_and_or_b32 v28, 0xffe, v9, v8
	s_or_b32 vcc_lo, s0, vcc_lo
	v_sub_nc_u32_e32 v8, 0x3f1, v15
	v_add_co_ci_u32_e32 v9, vcc_lo, 0, v25, vcc_lo
	v_fmac_f16_e32 v24, v10, v21
	v_cmp_ne_u32_e32 vcc_lo, 0, v13
	v_med3_i32 v33, v8, 0, 13
	v_or_b32_e32 v25, 0x1000, v28
	v_lshrrev_b32_e32 v26, 16, v37
	v_cvt_f32_f16_e32 v8, v24
	v_cndmask_b32_e64 v13, 0, 1, vcc_lo
	v_cmp_gt_i32_e32 vcc_lo, 31, v20
	v_lshrrev_b32_e32 v34, v33, v25
	v_lshrrev_b32_e32 v35, 8, v23
	v_bfe_u32 v36, v23, 20, 11
	v_lshl_or_b32 v13, v13, 9, 0x7c00
	v_cndmask_b32_e32 v24, 0x7c00, v9, vcc_lo
	v_cvt_f64_f32_e32 v[8:9], v8
	v_cmp_ne_u32_e32 vcc_lo, 0, v22
	v_lshlrev_b32_e32 v33, v33, v34
	v_and_or_b32 v17, 0x8000, v26, v17
	v_sub_nc_u32_e32 v26, 0x3f1, v36
	v_add_nc_u32_e32 v15, 0xfffffc10, v15
	v_cndmask_b32_e64 v22, 0, 1, vcc_lo
	v_cmp_eq_u32_e32 vcc_lo, 0x40f, v20
	v_mul_f16_e32 v21, v32, v21
	v_med3_i32 v26, v26, 0, 13
	v_lshrrev_b32_e32 v32, 16, v14
	v_and_or_b32 v22, 0xffe, v35, v22
	v_cndmask_b32_e32 v20, v24, v13, vcc_lo
	v_cmp_ne_u32_e32 vcc_lo, v33, v25
	v_lshl_or_b32 v35, v15, 12, v28
	v_mad_u64_u32 v[24:25], null, s8, 12, v[6:7]
	v_or_b32_e32 v33, 0x1000, v22
	v_cndmask_b32_e64 v13, 0, 1, vcc_lo
	v_cmp_gt_i32_e32 vcc_lo, 1, v15
	v_and_or_b32 v20, 0x8000, v32, v20
	v_and_b32_e32 v17, 0xffff, v17
	v_lshrrev_b32_e32 v37, v26, v33
	v_or_b32_e32 v34, v34, v13
	v_mul_f64 v[13:14], v[8:9], s[2:3]
	v_fma_f16 v9, v10, v27, -v21
	v_mov_b32_e32 v8, v25
	v_lshlrev_b32_e32 v21, v26, v37
	v_cndmask_b32_e32 v34, v35, v34, vcc_lo
	v_lshl_or_b32 v17, v20, 16, v17
	v_cvt_f32_f16_e32 v10, v9
	v_mad_u64_u32 v[8:9], null, s9, 12, v[8:9]
	v_and_b32_e32 v25, 7, v34
	v_cmp_ne_u32_e64 s0, v21, v33
	v_cvt_f64_f32_e32 v[9:10], v10
	v_lshrrev_b32_e32 v20, 2, v34
	v_add_nc_u32_e32 v26, 0xfffffc10, v36
	v_cmp_lt_i32_e32 vcc_lo, 5, v25
	v_cndmask_b32_e64 v21, 0, 1, s0
	v_cmp_eq_u32_e64 s0, 3, v25
	v_mov_b32_e32 v25, v8
	v_lshl_or_b32 v27, v26, 12, v22
	v_cmp_eq_u32_e64 s1, 0x40f, v15
	v_or_b32_e32 v21, v37, v21
	s_or_b32 vcc_lo, s0, vcc_lo
	v_and_or_b32 v13, 0x1ff, v14, v13
	v_add_co_ci_u32_e32 v32, vcc_lo, 0, v20, vcc_lo
	v_cmp_gt_i32_e32 vcc_lo, 1, v26
	v_bfe_u32 v33, v14, 20, 11
	v_lshrrev_b32_e32 v16, 16, v16
	global_store_dword v[24:25], v17, off
	v_cndmask_b32_e32 v8, v27, v21, vcc_lo
	v_cmp_ne_u32_e32 vcc_lo, 0, v13
	v_lshrrev_b32_e32 v27, 8, v14
	v_mul_f64 v[20:21], v[9:10], s[2:3]
	v_sub_nc_u32_e32 v10, 0x3f1, v33
	v_and_b32_e32 v9, 7, v8
	v_cndmask_b32_e64 v13, 0, 1, vcc_lo
	v_cmp_ne_u32_e32 vcc_lo, 0, v28
	v_lshrrev_b32_e32 v8, 2, v8
	v_med3_i32 v10, v10, 0, 13
	v_cmp_eq_u32_e64 s0, 3, v9
	v_and_or_b32 v13, 0xffe, v27, v13
	v_cndmask_b32_e64 v28, 0, 1, vcc_lo
	v_cmp_gt_i32_e32 vcc_lo, 31, v15
	v_lshl_or_b32 v28, v28, 9, 0x7c00
	v_cndmask_b32_e32 v27, 0x7c00, v32, vcc_lo
	v_cmp_lt_i32_e32 vcc_lo, 5, v9
	v_or_b32_e32 v32, 0x1000, v13
	v_cndmask_b32_e64 v15, v27, v28, s1
	s_or_b32 vcc_lo, s0, vcc_lo
	v_lshrrev_b32_e32 v9, v10, v32
	v_add_co_ci_u32_e32 v8, vcc_lo, 0, v8, vcc_lo
	v_cmp_ne_u32_e32 vcc_lo, 0, v22
	s_waitcnt lgkmcnt(0)
	v_lshrrev_b32_e32 v27, 16, v18
	v_lshlrev_b32_e32 v10, v10, v9
	v_and_or_b32 v20, 0x1ff, v21, v20
	v_and_or_b32 v15, 0x8000, v16, v15
	v_cndmask_b32_e64 v22, 0, 1, vcc_lo
	v_cmp_gt_i32_e32 vcc_lo, 31, v26
	v_mul_f16_sdwa v28, v11, v27 dst_sel:DWORD dst_unused:UNUSED_PAD src0_sel:WORD_1 src1_sel:DWORD
	v_and_b32_e32 v15, 0xffff, v15
	v_lshl_or_b32 v22, v22, 9, 0x7c00
	v_cndmask_b32_e32 v34, 0x7c00, v8, vcc_lo
	v_cmp_ne_u32_e32 vcc_lo, v10, v32
	v_fmac_f16_e32 v28, v11, v18
	v_add_nc_u32_e32 v32, 0xfffffc10, v33
	v_bfe_u32 v33, v21, 20, 11
	v_mul_f16_sdwa v18, v11, v18 dst_sel:DWORD dst_unused:UNUSED_PAD src0_sel:WORD_1 src1_sel:DWORD
	v_cndmask_b32_e64 v8, 0, 1, vcc_lo
	v_cmp_ne_u32_e32 vcc_lo, 0, v20
	v_cvt_f32_f16_e32 v10, v28
	v_lshrrev_b32_e32 v28, 8, v21
	v_fma_f16 v11, v11, v27, -v18
	v_or_b32_e32 v35, v9, v8
	v_cndmask_b32_e64 v20, 0, 1, vcc_lo
	v_cmp_eq_u32_e32 vcc_lo, 0x40f, v26
	v_cvt_f64_f32_e32 v[8:9], v10
	v_lshl_or_b32 v10, v32, 12, v13
	v_lshrrev_b32_e32 v27, 16, v19
	v_and_or_b32 v20, 0xffe, v28, v20
	v_sub_nc_u32_e32 v28, 0x3f1, v33
	v_cndmask_b32_e32 v22, v34, v22, vcc_lo
	v_cmp_gt_i32_e32 vcc_lo, 1, v32
	v_lshrrev_b32_e32 v21, 16, v21
	v_or_b32_e32 v26, 0x1000, v20
	v_med3_i32 v28, v28, 0, 13
	v_cndmask_b32_e32 v34, v10, v35, vcc_lo
	v_lshrrev_b32_e32 v10, 16, v23
	v_lshrrev_b32_e32 v18, v28, v26
	v_and_b32_e32 v16, 7, v34
	v_and_or_b32 v22, 0x8000, v10, v22
	v_cvt_f32_f16_e32 v10, v11
	v_lshlrev_b32_e32 v23, v28, v18
	v_mul_f16_e32 v28, v31, v27
	v_cmp_lt_i32_e32 vcc_lo, 5, v16
	v_mul_f64 v[8:9], v[8:9], s[2:3]
	v_cvt_f64_f32_e32 v[10:11], v10
	v_cmp_ne_u32_e64 s0, v23, v26
	v_add_nc_u32_e32 v26, 0xfffffc10, v33
	v_lshl_or_b32 v22, v22, 16, v15
	v_fmac_f16_e32 v28, v12, v19
	v_mul_f16_e32 v19, v31, v19
	v_cndmask_b32_e64 v23, 0, 1, s0
	v_cmp_eq_u32_e64 s0, 3, v16
	v_lshrrev_b32_e32 v16, 2, v34
	v_or_b32_e32 v17, v18, v23
	s_or_b32 vcc_lo, s0, vcc_lo
	v_lshl_or_b32 v18, v26, 12, v20
	v_add_co_ci_u32_e32 v16, vcc_lo, 0, v16, vcc_lo
	v_cmp_gt_i32_e32 vcc_lo, 1, v26
	v_cndmask_b32_e32 v17, v18, v17, vcc_lo
	v_cmp_ne_u32_e32 vcc_lo, 0, v13
	v_mul_f64 v[10:11], v[10:11], s[2:3]
	v_and_or_b32 v8, 0x1ff, v9, v8
	v_lshrrev_b32_e32 v23, 8, v9
	v_and_b32_e32 v15, 7, v17
	v_cndmask_b32_e64 v13, 0, 1, vcc_lo
	v_cmp_gt_i32_e32 vcc_lo, 31, v32
	v_lshrrev_b32_e32 v17, 2, v17
	v_cmp_ne_u32_e64 s1, 0, v8
	v_cmp_eq_u32_e64 s0, 3, v15
	v_lshl_or_b32 v13, v13, 9, 0x7c00
	v_cndmask_b32_e32 v18, 0x7c00, v16, vcc_lo
	v_cmp_lt_i32_e32 vcc_lo, 5, v15
	v_cndmask_b32_e64 v8, 0, 1, s1
	v_bfe_u32 v24, v9, 20, 11
	v_add_co_u32 v15, s1, v6, s4
	s_or_b32 vcc_lo, s0, vcc_lo
	v_and_or_b32 v23, 0xffe, v23, v8
	v_add_co_ci_u32_e32 v17, vcc_lo, 0, v17, vcc_lo
	v_cmp_eq_u32_e32 vcc_lo, 0x40f, v32
	v_sub_nc_u32_e32 v8, 0x3f1, v24
	v_and_or_b32 v10, 0x1ff, v11, v10
	v_or_b32_e32 v25, 0x1000, v23
	v_lshrrev_b32_e32 v32, 16, v14
	v_cndmask_b32_e32 v18, v18, v13, vcc_lo
	v_cmp_ne_u32_e32 vcc_lo, 0, v20
	v_med3_i32 v8, v8, 0, 13
	v_lshrrev_b32_e32 v14, 8, v11
	v_bfe_u32 v33, v11, 20, 11
	v_add_nc_u32_e32 v24, 0xfffffc10, v24
	v_cndmask_b32_e64 v13, 0, 1, vcc_lo
	v_cmp_gt_i32_e32 vcc_lo, 31, v26
	v_lshrrev_b32_e32 v20, v8, v25
	v_add_co_ci_u32_e64 v16, s1, s5, v7, s1
	v_lshl_or_b32 v13, v13, 9, 0x7c00
	v_cndmask_b32_e32 v17, 0x7c00, v17, vcc_lo
	v_cmp_ne_u32_e32 vcc_lo, 0, v10
	v_lshlrev_b32_e32 v8, v8, v20
	global_store_dword v[15:16], v22, off
	v_cndmask_b32_e64 v10, 0, 1, vcc_lo
	v_cmp_eq_u32_e32 vcc_lo, 0x40f, v26
	v_cndmask_b32_e32 v26, v17, v13, vcc_lo
	v_cvt_f32_f16_e32 v13, v28
	v_and_or_b32 v28, 0xffe, v14, v10
	v_cmp_ne_u32_e32 vcc_lo, v8, v25
	v_sub_nc_u32_e32 v10, 0x3f1, v33
	v_lshl_or_b32 v17, v24, 12, v23
	v_cvt_f64_f32_e32 v[13:14], v13
	v_or_b32_e32 v25, 0x1000, v28
	v_cndmask_b32_e64 v8, 0, 1, vcc_lo
	v_med3_i32 v10, v10, 0, 13
	v_cmp_gt_i32_e32 vcc_lo, 1, v24
	v_and_or_b32 v21, 0x8000, v21, v26
	v_or_b32_e32 v8, v20, v8
	v_and_or_b32 v20, 0x8000, v32, v18
	v_lshrrev_b32_e32 v32, v10, v25
	v_cndmask_b32_e32 v31, v17, v8, vcc_lo
	v_fma_f16 v8, v12, v27, -v19
	v_mad_u64_u32 v[17:18], null, s8, 20, v[6:7]
	v_lshlrev_b32_e32 v10, v10, v32
	v_and_b32_e32 v19, 7, v31
	v_cvt_f32_f16_e32 v12, v8
	v_and_b32_e32 v20, 0xffff, v20
	v_cmp_ne_u32_e64 s0, v10, v25
	v_mul_f64 v[14:15], v[13:14], s[2:3]
	v_mov_b32_e32 v8, v18
	v_cvt_f64_f32_e32 v[12:13], v12
	v_cmp_lt_i32_e32 vcc_lo, 5, v19
	v_cndmask_b32_e64 v16, 0, 1, s0
	v_cmp_eq_u32_e64 s0, 3, v19
	v_mad_u64_u32 v[18:19], null, s9, 20, v[8:9]
	v_lshrrev_b32_e32 v8, 2, v31
	v_add_nc_u32_e32 v10, 0xfffffc10, v33
	s_or_b32 vcc_lo, s0, vcc_lo
	v_or_b32_e32 v16, v32, v16
	v_lshl_or_b32 v20, v21, 16, v20
	v_add_co_ci_u32_e32 v8, vcc_lo, 0, v8, vcc_lo
	v_cmp_ne_u32_e32 vcc_lo, 0, v23
	v_lshl_or_b32 v19, v10, 12, v28
	global_store_dword v[17:18], v20, off
	v_lshrrev_b32_e32 v32, 16, v11
	v_cndmask_b32_e64 v22, 0, 1, vcc_lo
	v_cmp_gt_i32_e32 vcc_lo, 1, v10
	v_and_or_b32 v14, 0x1ff, v15, v14
	v_lshrrev_b32_e32 v18, 8, v15
	v_mul_f64 v[12:13], v[12:13], s[2:3]
	v_lshl_or_b32 v21, v22, 9, 0x7c00
	v_cndmask_b32_e32 v19, v19, v16, vcc_lo
	v_cmp_gt_i32_e32 vcc_lo, 31, v24
	ds_read2_b32 v[16:17], v30 offset0:8 offset1:9
	v_cmp_ne_u32_e64 s1, 0, v14
	v_bfe_u32 v20, v15, 20, 11
	v_and_b32_e32 v22, 7, v19
	v_cndmask_b32_e32 v8, 0x7c00, v8, vcc_lo
	v_cndmask_b32_e64 v14, 0, 1, s1
	v_cmp_eq_u32_e64 s1, 0x40f, v24
	v_cmp_lt_i32_e32 vcc_lo, 5, v22
	v_cmp_eq_u32_e64 s0, 3, v22
	v_and_or_b32 v14, 0xffe, v18, v14
	v_cndmask_b32_e64 v21, v8, v21, s1
	v_lshrrev_b32_e32 v8, 2, v19
	s_or_b32 vcc_lo, s0, vcc_lo
	v_sub_nc_u32_e32 v18, 0x3f1, v20
	v_or_b32_e32 v24, 0x1000, v14
	v_add_co_ci_u32_e32 v22, vcc_lo, 0, v8, vcc_lo
	v_cmp_ne_u32_e32 vcc_lo, 0, v28
	s_waitcnt lgkmcnt(0)
	v_lshrrev_b32_e32 v26, 16, v16
	v_med3_i32 v25, v18, 0, 13
	v_and_or_b32 v12, 0x1ff, v13, v12
	ds_read2_b32 v[18:19], v30 offset0:10 offset1:11
	ds_read_b32 v8, v30 offset:48
	v_cndmask_b32_e64 v23, 0, 1, vcc_lo
	v_cmp_gt_i32_e32 vcc_lo, 31, v10
	v_mul_f16_sdwa v28, v1, v26 dst_sel:DWORD dst_unused:UNUSED_PAD src0_sel:WORD_1 src1_sel:DWORD
	v_lshrrev_b32_e32 v27, v25, v24
	v_lshrrev_b32_e32 v30, 16, v9
	v_lshl_or_b32 v23, v23, 9, 0x7c00
	v_cndmask_b32_e32 v22, 0x7c00, v22, vcc_lo
	v_cmp_ne_u32_e32 vcc_lo, 0, v12
	v_fmac_f16_e32 v28, v1, v16
	v_lshlrev_b32_e32 v9, v25, v27
	v_lshrrev_b32_e32 v25, 8, v13
	v_bfe_u32 v31, v13, 20, 11
	v_cndmask_b32_e64 v12, 0, 1, vcc_lo
	v_cmp_eq_u32_e32 vcc_lo, 0x40f, v10
	v_cvt_f32_f16_e32 v10, v28
	v_mul_f16_sdwa v16, v1, v16 dst_sel:DWORD dst_unused:UNUSED_PAD src0_sel:WORD_1 src1_sel:DWORD
	v_and_or_b32 v25, 0xffe, v25, v12
	v_cndmask_b32_e32 v22, v22, v23, vcc_lo
	v_sub_nc_u32_e32 v12, 0x3f1, v31
	v_cmp_ne_u32_e32 vcc_lo, v9, v24
	v_cvt_f64_f32_e32 v[9:10], v10
	v_add_nc_u32_e32 v24, 0xfffffc10, v20
	v_or_b32_e32 v20, 0x1000, v25
	v_med3_i32 v28, v12, 0, 13
	v_cndmask_b32_e64 v23, 0, 1, vcc_lo
	v_fma_f16 v1, v1, v26, -v16
	v_cmp_gt_i32_e32 vcc_lo, 1, v24
	v_mad_u64_u32 v[11:12], null, s8, 24, v[6:7]
	v_or_b32_e32 v23, v27, v23
	v_lshl_or_b32 v27, v24, 12, v14
	v_lshrrev_b32_e32 v33, v28, v20
	v_cvt_f32_f16_e32 v1, v1
	v_and_or_b32 v26, 0x8000, v30, v21
	v_cmp_eq_u32_e64 s1, 0x40f, v24
	v_cndmask_b32_e32 v16, v27, v23, vcc_lo
	v_lshlrev_b32_e32 v23, v28, v33
	v_and_or_b32 v27, 0x8000, v32, v22
	v_add_nc_u32_e32 v28, 0xfffffc10, v31
	v_and_b32_e32 v22, 7, v16
	v_cmp_ne_u32_e32 vcc_lo, v23, v20
	v_cvt_f64_f32_e32 v[20:21], v1
	v_mul_f64 v[9:10], v[9:10], s[2:3]
	v_mov_b32_e32 v1, v12
	v_cmp_eq_u32_e64 s0, 3, v22
	v_cndmask_b32_e64 v23, 0, 1, vcc_lo
	v_cmp_lt_i32_e32 vcc_lo, 5, v22
	v_lshrrev_b32_e32 v12, 2, v16
	v_lshl_or_b32 v22, v28, 12, v25
	v_or_b32_e32 v16, v33, v23
	s_or_b32 vcc_lo, s0, vcc_lo
	v_add_co_ci_u32_e32 v12, vcc_lo, 0, v12, vcc_lo
	v_cmp_ne_u32_e32 vcc_lo, 0, v14
	v_cndmask_b32_e64 v14, 0, 1, vcc_lo
	v_cmp_gt_i32_e32 vcc_lo, 1, v28
	v_mul_f64 v[20:21], v[20:21], s[2:3]
	v_and_or_b32 v9, 0x1ff, v10, v9
	v_lshl_or_b32 v14, v14, 9, 0x7c00
	v_cndmask_b32_e32 v16, v22, v16, vcc_lo
	v_cmp_gt_i32_e32 vcc_lo, 31, v24
	v_mad_u64_u32 v[22:23], null, s9, 24, v[1:2]
	v_and_b32_e32 v1, 0xffff, v26
	v_and_b32_e32 v23, 7, v16
	v_cndmask_b32_e32 v12, 0x7c00, v12, vcc_lo
	v_lshrrev_b32_e32 v24, 16, v17
	v_lshl_or_b32 v26, v27, 16, v1
	v_cmp_lt_i32_e32 vcc_lo, 5, v23
	v_cndmask_b32_e64 v1, v12, v14, s1
	v_cmp_ne_u32_e64 s1, 0, v9
	v_cmp_eq_u32_e64 s0, 3, v23
	v_lshrrev_b32_e32 v14, 2, v16
	v_lshrrev_b32_e32 v12, 8, v10
	v_bfe_u32 v23, v10, 20, 11
	v_cndmask_b32_e64 v9, 0, 1, s1
	s_or_b32 vcc_lo, s0, vcc_lo
	v_lshrrev_b32_e32 v27, 16, v15
	v_add_co_ci_u32_e32 v14, vcc_lo, 0, v14, vcc_lo
	v_and_or_b32 v30, 0xffe, v12, v9
	v_sub_nc_u32_e32 v9, 0x3f1, v23
	v_mul_f16_e32 v12, v29, v24
	v_cmp_ne_u32_e32 vcc_lo, 0, v25
	v_and_or_b32 v20, 0x1ff, v21, v20
	v_or_b32_e32 v16, 0x1000, v30
	v_med3_i32 v9, v9, 0, 13
	v_fmac_f16_e32 v12, v2, v17
	v_cndmask_b32_e64 v15, 0, 1, vcc_lo
	v_cmp_gt_i32_e32 vcc_lo, 31, v28
	v_bfe_u32 v33, v21, 20, 11
	v_lshrrev_b32_e32 v25, v9, v16
	v_cvt_f32_f16_e32 v12, v12
	v_lshl_or_b32 v32, v15, 9, 0x7c00
	v_cndmask_b32_e32 v31, 0x7c00, v14, vcc_lo
	v_cmp_ne_u32_e32 vcc_lo, 0, v20
	v_lshlrev_b32_e32 v9, v9, v25
	v_cvt_f64_f32_e32 v[14:15], v12
	v_lshrrev_b32_e32 v20, 8, v21
	v_add_nc_u32_e32 v23, 0xfffffc10, v23
	v_cndmask_b32_e64 v12, 0, 1, vcc_lo
	v_cmp_eq_u32_e32 vcc_lo, 0x40f, v28
	v_lshrrev_b32_e32 v21, 16, v21
	v_and_or_b32 v20, 0xffe, v20, v12
	v_cndmask_b32_e32 v28, v31, v32, vcc_lo
	v_sub_nc_u32_e32 v12, 0x3f1, v33
	v_cmp_ne_u32_e32 vcc_lo, v9, v16
	v_lshrrev_b32_e32 v31, 16, v13
	v_mul_f16_e32 v13, v29, v17
	v_or_b32_e32 v17, 0x1000, v20
	v_med3_i32 v12, v12, 0, 13
	v_cndmask_b32_e64 v9, 0, 1, vcc_lo
	v_cmp_gt_i32_e32 vcc_lo, 1, v23
	v_fma_f16 v2, v2, v24, -v13
	v_lshl_or_b32 v13, v23, 12, v30
	v_and_or_b32 v24, 0x8000, v27, v1
	v_or_b32_e32 v9, v25, v9
	v_lshrrev_b32_e32 v25, v12, v17
	v_cvt_f32_f16_e32 v16, v2
	v_mul_f64 v[1:2], v[14:15], s[2:3]
	v_add_nc_u32_e32 v29, 0xfffffc10, v33
	v_cndmask_b32_e32 v27, v13, v9, vcc_lo
	v_lshlrev_b32_e32 v9, v12, v25
	v_cvt_f64_f32_e32 v[13:14], v16
	v_mad_u64_u32 v[15:16], null, s8, 28, v[6:7]
	v_mov_b32_e32 v12, v22
	v_and_or_b32 v22, 0x8000, v31, v28
	v_and_b32_e32 v28, 7, v27
	v_cmp_ne_u32_e32 vcc_lo, v9, v17
	v_and_b32_e32 v24, 0xffff, v24
	global_store_dword v[11:12], v26, off
	v_mov_b32_e32 v9, v16
	v_cmp_eq_u32_e64 s0, 3, v28
	v_cndmask_b32_e64 v17, 0, 1, vcc_lo
	v_cmp_lt_i32_e32 vcc_lo, 5, v28
	v_lshrrev_b32_e32 v16, 2, v27
	v_lshl_or_b32 v22, v22, 16, v24
	s_waitcnt lgkmcnt(1)
	v_lshrrev_b32_e32 v24, 16, v18
	v_or_b32_e32 v17, v25, v17
	s_or_b32 vcc_lo, s0, vcc_lo
	v_lshl_or_b32 v25, v29, 12, v20
	v_add_co_ci_u32_e32 v27, vcc_lo, 0, v16, vcc_lo
	v_cmp_ne_u32_e32 vcc_lo, 0, v30
	v_and_or_b32 v1, 0x1ff, v2, v1
	v_mul_f64 v[13:14], v[13:14], s[2:3]
	v_bfe_u32 v30, v2, 20, 11
	v_cndmask_b32_e64 v28, 0, 1, vcc_lo
	v_cmp_gt_i32_e32 vcc_lo, 1, v29
	v_cndmask_b32_e32 v25, v25, v17, vcc_lo
	v_cmp_gt_i32_e32 vcc_lo, 31, v23
	v_mad_u64_u32 v[16:17], null, s9, 28, v[9:10]
	v_lshl_or_b32 v17, v28, 9, 0x7c00
	v_lshrrev_b32_e32 v28, 8, v2
	v_cndmask_b32_e32 v9, 0x7c00, v27, vcc_lo
	v_cmp_ne_u32_e32 vcc_lo, 0, v1
	v_and_b32_e32 v27, 7, v25
	v_lshrrev_b32_e32 v25, 2, v25
	global_store_dword v[15:16], v22, off
	v_cndmask_b32_e64 v1, 0, 1, vcc_lo
	v_cmp_eq_u32_e32 vcc_lo, 0x40f, v23
	v_cmp_eq_u32_e64 s0, 3, v27
	v_lshrrev_b32_e32 v31, 8, v14
	v_bfe_u32 v32, v14, 20, 11
	v_and_or_b32 v23, 0xffe, v28, v1
	v_sub_nc_u32_e32 v1, 0x3f1, v30
	v_cndmask_b32_e32 v17, v9, v17, vcc_lo
	v_cmp_lt_i32_e32 vcc_lo, 5, v27
	v_and_or_b32 v9, 0x1ff, v14, v13
	v_or_b32_e32 v27, 0x1000, v23
	v_med3_i32 v1, v1, 0, 13
	v_lshrrev_b32_e32 v13, 16, v10
	v_mul_f16_sdwa v10, v3, v24 dst_sel:DWORD dst_unused:UNUSED_PAD src0_sel:WORD_1 src1_sel:DWORD
	v_cmp_ne_u32_e64 s1, 0, v9
	s_or_b32 vcc_lo, s0, vcc_lo
	v_lshrrev_b32_e32 v28, v1, v27
	v_add_co_ci_u32_e32 v25, vcc_lo, 0, v25, vcc_lo
	v_fmac_f16_e32 v10, v3, v18
	v_cmp_ne_u32_e32 vcc_lo, 0, v20
	v_lshlrev_b32_e32 v1, v1, v28
	v_cndmask_b32_e64 v9, 0, 1, s1
	v_sub_nc_u32_e32 v33, 0x3f1, v32
	v_cvt_f32_f16_e32 v10, v10
	v_cndmask_b32_e64 v20, 0, 1, vcc_lo
	v_cmp_ne_u32_e32 vcc_lo, v1, v27
	v_and_or_b32 v31, 0xffe, v31, v9
	v_med3_i32 v33, v33, 0, 13
	v_cvt_f64_f32_e32 v[9:10], v10
	v_add_nc_u32_e32 v27, 0xfffffc10, v30
	v_cndmask_b32_e64 v1, 0, 1, vcc_lo
	v_cmp_gt_i32_e32 vcc_lo, 31, v29
	v_or_b32_e32 v34, 0x1000, v31
	v_lshl_or_b32 v20, v20, 9, 0x7c00
	v_and_or_b32 v13, 0x8000, v13, v17
	v_or_b32_e32 v1, v28, v1
	v_cndmask_b32_e32 v25, 0x7c00, v25, vcc_lo
	v_cmp_eq_u32_e32 vcc_lo, 0x40f, v29
	v_lshrrev_b32_e32 v30, v33, v34
	v_lshl_or_b32 v28, v27, 12, v23
	v_mul_f16_sdwa v18, v3, v18 dst_sel:DWORD dst_unused:UNUSED_PAD src0_sel:WORD_1 src1_sel:DWORD
	v_and_b32_e32 v13, 0xffff, v13
	v_cndmask_b32_e32 v20, v25, v20, vcc_lo
	v_cmp_gt_i32_e32 vcc_lo, 1, v27
	v_lshlrev_b32_e32 v17, v33, v30
	v_fma_f16 v3, v3, v24, -v18
	v_add_nc_u32_e32 v25, 0xfffffc10, v32
	v_and_or_b32 v20, 0x8000, v21, v20
	v_cndmask_b32_e32 v1, v28, v1, vcc_lo
	v_cmp_ne_u32_e32 vcc_lo, v17, v34
	v_mul_f64 v[9:10], v[9:10], s[2:3]
	v_cvt_f32_f16_e32 v3, v3
	v_lshl_or_b32 v18, v25, 12, v31
	v_and_b32_e32 v21, 7, v1
	v_cndmask_b32_e64 v17, 0, 1, vcc_lo
	v_lshrrev_b32_e32 v1, 2, v1
	v_cmp_gt_i32_e64 s1, 1, v25
	v_cvt_f64_f32_e32 v[11:12], v3
	v_cmp_lt_i32_e32 vcc_lo, 5, v21
	v_cmp_eq_u32_e64 s0, 3, v21
	v_or_b32_e32 v17, v30, v17
	v_lshrrev_b32_e32 v24, 16, v2
	s_or_b32 vcc_lo, s0, vcc_lo
	v_cndmask_b32_e64 v17, v18, v17, s1
	v_add_co_ci_u32_e32 v3, vcc_lo, 0, v1, vcc_lo
	v_cmp_ne_u32_e32 vcc_lo, 0, v23
	v_lshl_or_b32 v1, v20, 16, v13
	v_and_b32_e32 v15, 7, v17
	v_lshrrev_b32_e32 v18, 16, v19
	v_and_or_b32 v9, 0x1ff, v10, v9
	v_cndmask_b32_e64 v13, 0, 1, vcc_lo
	v_cmp_gt_i32_e32 vcc_lo, 31, v27
	v_cmp_eq_u32_e64 s0, 3, v15
	v_lshrrev_b32_e32 v16, 8, v10
	v_cmp_ne_u32_e64 s1, 0, v9
	v_mul_f16_e32 v21, v0, v18
	v_cndmask_b32_e32 v3, 0x7c00, v3, vcc_lo
	v_cmp_lt_i32_e32 vcc_lo, 5, v15
	v_lshrrev_b32_e32 v15, 2, v17
	v_cndmask_b32_e64 v9, 0, 1, s1
	v_bfe_u32 v17, v10, 20, 11
	v_fmac_f16_e32 v21, v4, v19
	s_or_b32 vcc_lo, s0, vcc_lo
	v_mul_f64 v[11:12], v[11:12], s[2:3]
	v_add_co_ci_u32_e32 v15, vcc_lo, 0, v15, vcc_lo
	v_cmp_ne_u32_e32 vcc_lo, 0, v31
	v_and_or_b32 v20, 0xffe, v16, v9
	v_sub_nc_u32_e32 v9, 0x3f1, v17
	v_lshl_or_b32 v13, v13, 9, 0x7c00
	v_cvt_f32_f16_e32 v2, v21
	v_cndmask_b32_e64 v16, 0, 1, vcc_lo
	v_cmp_gt_i32_e32 vcc_lo, 31, v25
	v_or_b32_e32 v22, 0x1000, v20
	v_med3_i32 v9, v9, 0, 13
	v_mul_f16_e32 v0, v0, v19
	v_lshl_or_b32 v16, v16, 9, 0x7c00
	v_cndmask_b32_e32 v15, 0x7c00, v15, vcc_lo
	v_cmp_eq_u32_e32 vcc_lo, 0x40f, v27
	v_lshrrev_b32_e32 v23, v9, v22
	v_fma_f16 v0, v4, v18, -v0
	s_lshl_b64 s[0:1], s[8:9], 5
	v_cndmask_b32_e32 v13, v3, v13, vcc_lo
	v_cvt_f64_f32_e32 v[2:3], v2
	v_cmp_eq_u32_e32 vcc_lo, 0x40f, v25
	v_lshlrev_b32_e32 v9, v9, v23
	v_and_or_b32 v11, 0x1ff, v12, v11
	v_and_or_b32 v21, 0x8000, v24, v13
	v_bfe_u32 v24, v12, 20, 11
	v_cndmask_b32_e32 v15, v15, v16, vcc_lo
	v_cmp_ne_u32_e32 vcc_lo, v9, v22
	v_lshrrev_b32_e32 v16, 16, v14
	v_add_nc_u32_e32 v22, 0xfffffc10, v17
	v_mad_u64_u32 v[13:14], null, s8, 36, v[6:7]
	v_cndmask_b32_e64 v9, 0, 1, vcc_lo
	v_cmp_ne_u32_e32 vcc_lo, 0, v11
	v_lshrrev_b32_e32 v17, 8, v12
	v_and_or_b32 v25, 0x8000, v16, v15
	v_lshl_or_b32 v16, v22, 12, v20
	v_or_b32_e32 v15, v23, v9
	v_cndmask_b32_e64 v11, 0, 1, vcc_lo
	v_cmp_gt_i32_e32 vcc_lo, 1, v22
	v_mov_b32_e32 v9, v14
	v_cvt_f32_f16_e32 v0, v0
	v_mul_f64 v[2:3], v[2:3], s[2:3]
	v_and_or_b32 v11, 0xffe, v17, v11
	v_sub_nc_u32_e32 v17, 0x3f1, v24
	v_cndmask_b32_e32 v23, v16, v15, vcc_lo
	v_mad_u64_u32 v[14:15], null, s9, 36, v[9:10]
	v_or_b32_e32 v26, 0x1000, v11
	v_med3_i32 v17, v17, 0, 13
	v_and_b32_e32 v9, 7, v23
	v_add_co_u32 v15, vcc_lo, v6, s0
	v_add_co_ci_u32_e32 v16, vcc_lo, s1, v7, vcc_lo
	v_lshrrev_b32_e32 v27, v17, v26
	v_cmp_lt_i32_e32 vcc_lo, 5, v9
	v_cmp_eq_u32_e64 s0, 3, v9
	v_lshrrev_b32_e32 v9, 2, v23
	v_and_b32_e32 v21, 0xffff, v21
	v_lshlrev_b32_e32 v4, v17, v27
	v_cvt_f64_f32_e32 v[17:18], v0
	s_or_b32 vcc_lo, s0, vcc_lo
	v_lshrrev_b32_e32 v10, 16, v10
	v_and_or_b32 v0, 0x1ff, v3, v2
	v_add_co_ci_u32_e32 v9, vcc_lo, 0, v9, vcc_lo
	v_cmp_ne_u32_e64 s1, v4, v26
	v_add_nc_u32_e32 v2, 0xfffffc10, v24
	v_cmp_ne_u32_e32 vcc_lo, 0, v0
	v_lshl_or_b32 v19, v25, 16, v21
	v_lshrrev_b32_e32 v23, 8, v3
	v_cndmask_b32_e64 v4, 0, 1, s1
	v_lshl_or_b32 v21, v2, 12, v11
	v_cndmask_b32_e64 v0, 0, 1, vcc_lo
	v_cmp_ne_u32_e32 vcc_lo, 0, v20
	v_bfe_u32 v24, v3, 20, 11
	v_or_b32_e32 v4, v27, v4
	v_cmp_eq_u32_e64 s1, 0x40f, v22
	v_lshrrev_b32_e32 v12, 16, v12
	v_cndmask_b32_e64 v20, 0, 1, vcc_lo
	v_cmp_gt_i32_e32 vcc_lo, 1, v2
	v_mul_f64 v[17:18], v[17:18], s[2:3]
	v_lshl_or_b32 v20, v20, 9, 0x7c00
	v_cndmask_b32_e32 v4, v21, v4, vcc_lo
	v_and_or_b32 v21, 0xffe, v23, v0
	v_sub_nc_u32_e32 v0, 0x3f1, v24
	v_cmp_gt_i32_e32 vcc_lo, 31, v22
	s_waitcnt lgkmcnt(0)
	v_lshrrev_b32_e32 v23, 16, v8
	v_and_b32_e32 v25, 7, v4
	v_or_b32_e32 v26, 0x1000, v21
	v_med3_i32 v0, v0, 0, 13
	v_cndmask_b32_e32 v9, 0x7c00, v9, vcc_lo
	v_lshrrev_b32_e32 v4, 2, v4
	v_cmp_lt_i32_e32 vcc_lo, 5, v25
	v_cmp_eq_u32_e64 s0, 3, v25
	v_mul_f16_sdwa v27, v5, v23 dst_sel:DWORD dst_unused:UNUSED_PAD src0_sel:WORD_1 src1_sel:DWORD
	v_lshrrev_b32_e32 v25, v0, v26
	v_cndmask_b32_e64 v20, v9, v20, s1
	v_mul_f16_sdwa v22, v5, v8 dst_sel:DWORD dst_unused:UNUSED_PAD src0_sel:WORD_1 src1_sel:DWORD
	s_or_b32 vcc_lo, s0, vcc_lo
	v_fmac_f16_e32 v27, v5, v8
	v_add_co_ci_u32_e32 v4, vcc_lo, 0, v4, vcc_lo
	v_lshlrev_b32_e32 v0, v0, v25
	v_cmp_gt_i32_e32 vcc_lo, 31, v2
	v_cvt_f32_f16_e32 v9, v27
	v_fma_f16 v5, v5, v23, -v22
	v_and_or_b32 v20, 0x8000, v10, v20
	v_cndmask_b32_e32 v27, 0x7c00, v4, vcc_lo
	v_cmp_ne_u32_e32 vcc_lo, v0, v26
	v_and_or_b32 v4, 0x1ff, v18, v17
	v_cvt_f64_f32_e32 v[8:9], v9
	v_add_nc_u32_e32 v17, 0xfffffc10, v24
	v_cvt_f32_f16_e32 v5, v5
	v_cndmask_b32_e64 v0, 0, 1, vcc_lo
	v_cmp_ne_u32_e32 vcc_lo, 0, v11
	v_lshrrev_b32_e32 v24, 8, v18
	v_lshl_or_b32 v22, v17, 12, v21
	v_and_b32_e32 v20, 0xffff, v20
	v_or_b32_e32 v0, v25, v0
	v_cndmask_b32_e64 v11, 0, 1, vcc_lo
	v_cmp_ne_u32_e32 vcc_lo, 0, v4
	v_bfe_u32 v25, v18, 20, 11
	v_cvt_f64_f32_e32 v[4:5], v5
	v_lshl_or_b32 v11, v11, 9, 0x7c00
	v_cndmask_b32_e64 v23, 0, 1, vcc_lo
	v_cmp_gt_i32_e32 vcc_lo, 1, v17
	v_cndmask_b32_e32 v0, v22, v0, vcc_lo
	v_and_or_b32 v22, 0xffe, v24, v23
	v_sub_nc_u32_e32 v23, 0x3f1, v25
	v_cmp_eq_u32_e32 vcc_lo, 0x40f, v2
	v_mul_f64 v[8:9], v[8:9], s[2:3]
	v_and_b32_e32 v10, 7, v0
	v_or_b32_e32 v24, 0x1000, v22
	v_med3_i32 v23, v23, 0, 13
	v_cndmask_b32_e32 v2, v27, v11, vcc_lo
	v_lshrrev_b32_e32 v0, 2, v0
	v_cmp_lt_i32_e32 vcc_lo, 5, v10
	v_cmp_eq_u32_e64 s0, 3, v10
	v_lshrrev_b32_e32 v26, v23, v24
	v_and_or_b32 v12, 0x8000, v12, v2
	v_mul_f64 v[4:5], v[4:5], s[2:3]
	v_mad_u64_u32 v[10:11], null, s8, 40, v[6:7]
	v_lshlrev_b32_e32 v2, v23, v26
	s_or_b32 vcc_lo, s0, vcc_lo
	v_add_co_ci_u32_e32 v23, vcc_lo, 0, v0, vcc_lo
	v_cmp_ne_u32_e32 vcc_lo, v2, v24
	v_mov_b32_e32 v0, v11
	v_add_nc_u32_e32 v11, 0xfffffc10, v25
	v_and_or_b32 v8, 0x1ff, v9, v8
	v_cndmask_b32_e64 v2, 0, 1, vcc_lo
	v_cmp_gt_i32_e32 vcc_lo, 31, v17
	v_lshrrev_b32_e32 v24, 8, v9
	v_bfe_u32 v25, v9, 20, 11
	v_lshrrev_b32_e32 v9, 16, v9
	v_or_b32_e32 v2, v26, v2
	v_cndmask_b32_e32 v23, 0x7c00, v23, vcc_lo
	v_cmp_ne_u32_e32 vcc_lo, 0, v21
	v_lshl_or_b32 v26, v11, 12, v22
	v_and_or_b32 v4, 0x1ff, v5, v4
	v_bfe_u32 v28, v5, 20, 11
	v_cndmask_b32_e64 v21, 0, 1, vcc_lo
	v_cmp_ne_u32_e32 vcc_lo, 0, v8
	v_lshl_or_b32 v21, v21, 9, 0x7c00
	v_cndmask_b32_e64 v8, 0, 1, vcc_lo
	v_cmp_gt_i32_e32 vcc_lo, 1, v11
	v_and_or_b32 v8, 0xffe, v24, v8
	v_sub_nc_u32_e32 v24, 0x3f1, v25
	v_cndmask_b32_e32 v26, v26, v2, vcc_lo
	v_cmp_ne_u32_e32 vcc_lo, 0, v4
	v_or_b32_e32 v27, 0x1000, v8
	v_med3_i32 v2, v24, 0, 13
	v_lshrrev_b32_e32 v24, 8, v5
	v_cndmask_b32_e64 v4, 0, 1, vcc_lo
	v_cmp_eq_u32_e32 vcc_lo, 0x40f, v17
	v_and_b32_e32 v29, 7, v26
	v_lshrrev_b32_e32 v5, 16, v5
	v_cndmask_b32_e32 v17, v23, v21, vcc_lo
	v_lshrrev_b32_e32 v21, v2, v27
	v_and_or_b32 v23, 0xffe, v24, v4
	v_lshrrev_b32_e32 v24, 16, v3
	v_sub_nc_u32_e32 v4, 0x3f1, v28
	v_cmp_lt_i32_e32 vcc_lo, 5, v29
	v_lshlrev_b32_e32 v30, v2, v21
	v_mad_u64_u32 v[2:3], null, s9, 40, v[0:1]
	v_and_or_b32 v0, 0x8000, v24, v17
	v_add_nc_u32_e32 v24, 0xfffffc10, v25
	v_cmp_ne_u32_e64 s0, v30, v27
	v_lshrrev_b32_e32 v25, 2, v26
	v_or_b32_e32 v31, 0x1000, v23
	v_med3_i32 v4, v4, 0, 13
	v_cndmask_b32_e64 v17, 0, 1, s0
	v_cmp_eq_u32_e64 s0, 3, v29
	v_lshrrev_b32_e32 v3, v4, v31
	v_or_b32_e32 v17, v21, v17
	s_or_b32 vcc_lo, s0, vcc_lo
	v_lshl_or_b32 v21, v24, 12, v8
	v_add_co_ci_u32_e32 v25, vcc_lo, 0, v25, vcc_lo
	v_cmp_gt_i32_e32 vcc_lo, 1, v24
	v_lshlrev_b32_e32 v4, v4, v3
	v_cndmask_b32_e32 v17, v21, v17, vcc_lo
	v_cmp_ne_u32_e32 vcc_lo, 0, v22
	v_add_nc_u32_e32 v22, 0xfffffc10, v28
	v_and_b32_e32 v26, 7, v17
	v_cndmask_b32_e64 v21, 0, 1, vcc_lo
	v_cmp_ne_u32_e32 vcc_lo, v4, v31
	v_lshrrev_b32_e32 v17, 2, v17
	v_cmp_gt_i32_e64 s1, 1, v22
	v_cmp_eq_u32_e64 s0, 3, v26
	v_lshl_or_b32 v21, v21, 9, 0x7c00
	v_cndmask_b32_e64 v4, 0, 1, vcc_lo
	v_cmp_gt_i32_e32 vcc_lo, 31, v11
	v_or_b32_e32 v3, v3, v4
	v_cndmask_b32_e32 v25, 0x7c00, v25, vcc_lo
	v_cmp_lt_i32_e32 vcc_lo, 5, v26
	v_lshl_or_b32 v4, v22, 12, v23
	s_or_b32 vcc_lo, s0, vcc_lo
	v_cndmask_b32_e64 v26, v4, v3, s1
	v_add_co_ci_u32_e32 v3, vcc_lo, 0, v17, vcc_lo
	v_cmp_ne_u32_e32 vcc_lo, 0, v8
	v_lshrrev_b32_e32 v17, 16, v18
	v_and_b32_e32 v8, 7, v26
	v_cmp_eq_u32_e64 s1, 0x40f, v24
	v_cndmask_b32_e64 v4, 0, 1, vcc_lo
	v_cmp_eq_u32_e32 vcc_lo, 0x40f, v11
	v_cmp_eq_u32_e64 s0, 3, v8
	v_cndmask_b32_e32 v11, v25, v21, vcc_lo
	v_cmp_gt_i32_e32 vcc_lo, 31, v24
	v_lshl_or_b32 v21, v4, 9, 0x7c00
	v_and_or_b32 v17, 0x8000, v17, v11
	v_cndmask_b32_e32 v18, 0x7c00, v3, vcc_lo
	v_cmp_lt_i32_e32 vcc_lo, 5, v8
	v_lshrrev_b32_e32 v8, 2, v26
	v_mad_u64_u32 v[3:4], null, s8, 44, v[6:7]
	v_mad_u64_u32 v[6:7], null, s8, 48, v[6:7]
	s_or_b32 vcc_lo, s0, vcc_lo
	v_cndmask_b32_e64 v18, v18, v21, s1
	v_add_co_ci_u32_e32 v8, vcc_lo, 0, v8, vcc_lo
	v_cmp_ne_u32_e32 vcc_lo, 0, v23
	v_and_b32_e32 v23, 0xffff, v0
	v_mov_b32_e32 v0, v4
	v_mov_b32_e32 v4, v7
	v_and_or_b32 v11, 0x8000, v9, v18
	v_cndmask_b32_e64 v21, 0, 1, vcc_lo
	v_cmp_gt_i32_e32 vcc_lo, 31, v22
	v_lshl_or_b32 v21, v21, 9, 0x7c00
	v_cndmask_b32_e32 v8, 0x7c00, v8, vcc_lo
	v_cmp_eq_u32_e32 vcc_lo, 0x40f, v22
	v_cndmask_b32_e32 v18, v8, v21, vcc_lo
	v_mad_u64_u32 v[7:8], null, s9, 44, v[0:1]
	v_mad_u64_u32 v[8:9], null, s9, 48, v[4:5]
	v_and_or_b32 v0, 0x8000, v5, v18
	v_and_b32_e32 v5, 0xffff, v11
	v_lshl_or_b32 v9, v12, 16, v20
	v_mov_b32_e32 v11, v2
	v_lshl_or_b32 v2, v17, 16, v23
	v_mov_b32_e32 v4, v7
	;; [unrolled: 2-line block ×3, first 2 shown]
	global_store_dword v[15:16], v1, off
	global_store_dword v[13:14], v19, off
	;; [unrolled: 1-line block ×5, first 2 shown]
.LBB0_2:
	s_endpgm
	.section	.rodata,"a",@progbits
	.p2align	6, 0x0
	.amdhsa_kernel bluestein_single_back_len13_dim1_half_op_CI_CI
		.amdhsa_group_segment_fixed_size 3328
		.amdhsa_private_segment_fixed_size 0
		.amdhsa_kernarg_size 104
		.amdhsa_user_sgpr_count 6
		.amdhsa_user_sgpr_private_segment_buffer 1
		.amdhsa_user_sgpr_dispatch_ptr 0
		.amdhsa_user_sgpr_queue_ptr 0
		.amdhsa_user_sgpr_kernarg_segment_ptr 1
		.amdhsa_user_sgpr_dispatch_id 0
		.amdhsa_user_sgpr_flat_scratch_init 0
		.amdhsa_user_sgpr_private_segment_size 0
		.amdhsa_wavefront_size32 1
		.amdhsa_uses_dynamic_stack 0
		.amdhsa_system_sgpr_private_segment_wavefront_offset 0
		.amdhsa_system_sgpr_workgroup_id_x 1
		.amdhsa_system_sgpr_workgroup_id_y 0
		.amdhsa_system_sgpr_workgroup_id_z 0
		.amdhsa_system_sgpr_workgroup_info 0
		.amdhsa_system_vgpr_workitem_id 0
		.amdhsa_next_free_vgpr 140
		.amdhsa_next_free_sgpr 16
		.amdhsa_reserve_vcc 1
		.amdhsa_reserve_flat_scratch 0
		.amdhsa_float_round_mode_32 0
		.amdhsa_float_round_mode_16_64 0
		.amdhsa_float_denorm_mode_32 3
		.amdhsa_float_denorm_mode_16_64 3
		.amdhsa_dx10_clamp 1
		.amdhsa_ieee_mode 1
		.amdhsa_fp16_overflow 0
		.amdhsa_workgroup_processor_mode 1
		.amdhsa_memory_ordered 1
		.amdhsa_forward_progress 0
		.amdhsa_shared_vgpr_count 0
		.amdhsa_exception_fp_ieee_invalid_op 0
		.amdhsa_exception_fp_denorm_src 0
		.amdhsa_exception_fp_ieee_div_zero 0
		.amdhsa_exception_fp_ieee_overflow 0
		.amdhsa_exception_fp_ieee_underflow 0
		.amdhsa_exception_fp_ieee_inexact 0
		.amdhsa_exception_int_div_zero 0
	.end_amdhsa_kernel
	.text
.Lfunc_end0:
	.size	bluestein_single_back_len13_dim1_half_op_CI_CI, .Lfunc_end0-bluestein_single_back_len13_dim1_half_op_CI_CI
                                        ; -- End function
	.section	.AMDGPU.csdata,"",@progbits
; Kernel info:
; codeLenInByte = 15624
; NumSgprs: 18
; NumVgprs: 140
; ScratchSize: 0
; MemoryBound: 0
; FloatMode: 240
; IeeeMode: 1
; LDSByteSize: 3328 bytes/workgroup (compile time only)
; SGPRBlocks: 2
; VGPRBlocks: 17
; NumSGPRsForWavesPerEU: 18
; NumVGPRsForWavesPerEU: 140
; Occupancy: 7
; WaveLimiterHint : 1
; COMPUTE_PGM_RSRC2:SCRATCH_EN: 0
; COMPUTE_PGM_RSRC2:USER_SGPR: 6
; COMPUTE_PGM_RSRC2:TRAP_HANDLER: 0
; COMPUTE_PGM_RSRC2:TGID_X_EN: 1
; COMPUTE_PGM_RSRC2:TGID_Y_EN: 0
; COMPUTE_PGM_RSRC2:TGID_Z_EN: 0
; COMPUTE_PGM_RSRC2:TIDIG_COMP_CNT: 0
	.text
	.p2alignl 6, 3214868480
	.fill 48, 4, 3214868480
	.type	__hip_cuid_b98979a440e10e,@object ; @__hip_cuid_b98979a440e10e
	.section	.bss,"aw",@nobits
	.globl	__hip_cuid_b98979a440e10e
__hip_cuid_b98979a440e10e:
	.byte	0                               ; 0x0
	.size	__hip_cuid_b98979a440e10e, 1

	.ident	"AMD clang version 19.0.0git (https://github.com/RadeonOpenCompute/llvm-project roc-6.4.0 25133 c7fe45cf4b819c5991fe208aaa96edf142730f1d)"
	.section	".note.GNU-stack","",@progbits
	.addrsig
	.addrsig_sym __hip_cuid_b98979a440e10e
	.amdgpu_metadata
---
amdhsa.kernels:
  - .args:
      - .actual_access:  read_only
        .address_space:  global
        .offset:         0
        .size:           8
        .value_kind:     global_buffer
      - .actual_access:  read_only
        .address_space:  global
        .offset:         8
        .size:           8
        .value_kind:     global_buffer
      - .actual_access:  read_only
        .address_space:  global
        .offset:         16
        .size:           8
        .value_kind:     global_buffer
      - .actual_access:  read_only
        .address_space:  global
        .offset:         24
        .size:           8
        .value_kind:     global_buffer
      - .actual_access:  read_only
        .address_space:  global
        .offset:         32
        .size:           8
        .value_kind:     global_buffer
      - .offset:         40
        .size:           8
        .value_kind:     by_value
      - .address_space:  global
        .offset:         48
        .size:           8
        .value_kind:     global_buffer
      - .address_space:  global
        .offset:         56
        .size:           8
        .value_kind:     global_buffer
      - .address_space:  global
        .offset:         64
        .size:           8
        .value_kind:     global_buffer
      - .address_space:  global
        .offset:         72
        .size:           8
        .value_kind:     global_buffer
      - .offset:         80
        .size:           4
        .value_kind:     by_value
      - .address_space:  global
        .offset:         88
        .size:           8
        .value_kind:     global_buffer
      - .address_space:  global
        .offset:         96
        .size:           8
        .value_kind:     global_buffer
    .group_segment_fixed_size: 3328
    .kernarg_segment_align: 8
    .kernarg_segment_size: 104
    .language:       OpenCL C
    .language_version:
      - 2
      - 0
    .max_flat_workgroup_size: 64
    .name:           bluestein_single_back_len13_dim1_half_op_CI_CI
    .private_segment_fixed_size: 0
    .sgpr_count:     18
    .sgpr_spill_count: 0
    .symbol:         bluestein_single_back_len13_dim1_half_op_CI_CI.kd
    .uniform_work_group_size: 1
    .uses_dynamic_stack: false
    .vgpr_count:     140
    .vgpr_spill_count: 0
    .wavefront_size: 32
    .workgroup_processor_mode: 1
amdhsa.target:   amdgcn-amd-amdhsa--gfx1030
amdhsa.version:
  - 1
  - 2
...

	.end_amdgpu_metadata
